;; amdgpu-corpus repo=ROCm/rocFFT kind=compiled arch=gfx906 opt=O3
	.text
	.amdgcn_target "amdgcn-amd-amdhsa--gfx906"
	.amdhsa_code_object_version 6
	.protected	fft_rtc_fwd_len1530_factors_17_3_6_5_wgs_102_tpt_102_halfLds_dp_ip_CI_sbrr_dirReg ; -- Begin function fft_rtc_fwd_len1530_factors_17_3_6_5_wgs_102_tpt_102_halfLds_dp_ip_CI_sbrr_dirReg
	.globl	fft_rtc_fwd_len1530_factors_17_3_6_5_wgs_102_tpt_102_halfLds_dp_ip_CI_sbrr_dirReg
	.p2align	8
	.type	fft_rtc_fwd_len1530_factors_17_3_6_5_wgs_102_tpt_102_halfLds_dp_ip_CI_sbrr_dirReg,@function
fft_rtc_fwd_len1530_factors_17_3_6_5_wgs_102_tpt_102_halfLds_dp_ip_CI_sbrr_dirReg: ; @fft_rtc_fwd_len1530_factors_17_3_6_5_wgs_102_tpt_102_halfLds_dp_ip_CI_sbrr_dirReg
; %bb.0:
	s_load_dwordx2 s[2:3], s[4:5], 0x18
	s_load_dwordx4 s[8:11], s[4:5], 0x0
	s_load_dwordx2 s[14:15], s[4:5], 0x50
	v_mul_u32_u24_e32 v1, 0x283, v0
	v_add_u32_sdwa v5, s6, v1 dst_sel:DWORD dst_unused:UNUSED_PAD src0_sel:DWORD src1_sel:WORD_1
	s_waitcnt lgkmcnt(0)
	s_load_dwordx2 s[12:13], s[2:3], 0x0
	v_cmp_lt_u64_e64 s[0:1], s[10:11], 2
	v_mov_b32_e32 v3, 0
	v_mov_b32_e32 v1, 0
	;; [unrolled: 1-line block ×3, first 2 shown]
	s_and_b64 vcc, exec, s[0:1]
	v_mov_b32_e32 v2, 0
	s_cbranch_vccnz .LBB0_8
; %bb.1:
	s_load_dwordx2 s[0:1], s[4:5], 0x10
	s_add_u32 s6, s2, 8
	s_addc_u32 s7, s3, 0
	v_mov_b32_e32 v1, 0
	v_mov_b32_e32 v2, 0
	s_waitcnt lgkmcnt(0)
	s_add_u32 s16, s0, 8
	s_addc_u32 s17, s1, 0
	s_mov_b64 s[18:19], 1
.LBB0_2:                                ; =>This Inner Loop Header: Depth=1
	s_load_dwordx2 s[20:21], s[16:17], 0x0
                                        ; implicit-def: $vgpr7_vgpr8
	s_waitcnt lgkmcnt(0)
	v_or_b32_e32 v4, s21, v6
	v_cmp_ne_u64_e32 vcc, 0, v[3:4]
	s_and_saveexec_b64 s[0:1], vcc
	s_xor_b64 s[22:23], exec, s[0:1]
	s_cbranch_execz .LBB0_4
; %bb.3:                                ;   in Loop: Header=BB0_2 Depth=1
	v_cvt_f32_u32_e32 v4, s20
	v_cvt_f32_u32_e32 v7, s21
	s_sub_u32 s0, 0, s20
	s_subb_u32 s1, 0, s21
	v_mac_f32_e32 v4, 0x4f800000, v7
	v_rcp_f32_e32 v4, v4
	v_mul_f32_e32 v4, 0x5f7ffffc, v4
	v_mul_f32_e32 v7, 0x2f800000, v4
	v_trunc_f32_e32 v7, v7
	v_mac_f32_e32 v4, 0xcf800000, v7
	v_cvt_u32_f32_e32 v7, v7
	v_cvt_u32_f32_e32 v4, v4
	v_mul_lo_u32 v8, s0, v7
	v_mul_hi_u32 v9, s0, v4
	v_mul_lo_u32 v11, s1, v4
	v_mul_lo_u32 v10, s0, v4
	v_add_u32_e32 v8, v9, v8
	v_add_u32_e32 v8, v8, v11
	v_mul_hi_u32 v9, v4, v10
	v_mul_lo_u32 v11, v4, v8
	v_mul_hi_u32 v13, v4, v8
	v_mul_hi_u32 v12, v7, v10
	v_mul_lo_u32 v10, v7, v10
	v_mul_hi_u32 v14, v7, v8
	v_add_co_u32_e32 v9, vcc, v9, v11
	v_addc_co_u32_e32 v11, vcc, 0, v13, vcc
	v_mul_lo_u32 v8, v7, v8
	v_add_co_u32_e32 v9, vcc, v9, v10
	v_addc_co_u32_e32 v9, vcc, v11, v12, vcc
	v_addc_co_u32_e32 v10, vcc, 0, v14, vcc
	v_add_co_u32_e32 v8, vcc, v9, v8
	v_addc_co_u32_e32 v9, vcc, 0, v10, vcc
	v_add_co_u32_e32 v4, vcc, v4, v8
	v_addc_co_u32_e32 v7, vcc, v7, v9, vcc
	v_mul_lo_u32 v8, s0, v7
	v_mul_hi_u32 v9, s0, v4
	v_mul_lo_u32 v10, s1, v4
	v_mul_lo_u32 v11, s0, v4
	v_add_u32_e32 v8, v9, v8
	v_add_u32_e32 v8, v8, v10
	v_mul_lo_u32 v12, v4, v8
	v_mul_hi_u32 v13, v4, v11
	v_mul_hi_u32 v14, v4, v8
	;; [unrolled: 1-line block ×3, first 2 shown]
	v_mul_lo_u32 v11, v7, v11
	v_mul_hi_u32 v9, v7, v8
	v_add_co_u32_e32 v12, vcc, v13, v12
	v_addc_co_u32_e32 v13, vcc, 0, v14, vcc
	v_mul_lo_u32 v8, v7, v8
	v_add_co_u32_e32 v11, vcc, v12, v11
	v_addc_co_u32_e32 v10, vcc, v13, v10, vcc
	v_addc_co_u32_e32 v9, vcc, 0, v9, vcc
	v_add_co_u32_e32 v8, vcc, v10, v8
	v_addc_co_u32_e32 v9, vcc, 0, v9, vcc
	v_add_co_u32_e32 v4, vcc, v4, v8
	v_addc_co_u32_e32 v9, vcc, v7, v9, vcc
	v_mad_u64_u32 v[7:8], s[0:1], v5, v9, 0
	v_mul_hi_u32 v10, v5, v4
	v_add_co_u32_e32 v11, vcc, v10, v7
	v_addc_co_u32_e32 v12, vcc, 0, v8, vcc
	v_mad_u64_u32 v[7:8], s[0:1], v6, v4, 0
	v_mad_u64_u32 v[9:10], s[0:1], v6, v9, 0
	v_add_co_u32_e32 v4, vcc, v11, v7
	v_addc_co_u32_e32 v4, vcc, v12, v8, vcc
	v_addc_co_u32_e32 v7, vcc, 0, v10, vcc
	v_add_co_u32_e32 v4, vcc, v4, v9
	v_addc_co_u32_e32 v9, vcc, 0, v7, vcc
	v_mul_lo_u32 v10, s21, v4
	v_mul_lo_u32 v11, s20, v9
	v_mad_u64_u32 v[7:8], s[0:1], s20, v4, 0
	v_add3_u32 v8, v8, v11, v10
	v_sub_u32_e32 v10, v6, v8
	v_mov_b32_e32 v11, s21
	v_sub_co_u32_e32 v7, vcc, v5, v7
	v_subb_co_u32_e64 v10, s[0:1], v10, v11, vcc
	v_subrev_co_u32_e64 v11, s[0:1], s20, v7
	v_subbrev_co_u32_e64 v10, s[0:1], 0, v10, s[0:1]
	v_cmp_le_u32_e64 s[0:1], s21, v10
	v_cndmask_b32_e64 v12, 0, -1, s[0:1]
	v_cmp_le_u32_e64 s[0:1], s20, v11
	v_cndmask_b32_e64 v11, 0, -1, s[0:1]
	v_cmp_eq_u32_e64 s[0:1], s21, v10
	v_cndmask_b32_e64 v10, v12, v11, s[0:1]
	v_add_co_u32_e64 v11, s[0:1], 2, v4
	v_addc_co_u32_e64 v12, s[0:1], 0, v9, s[0:1]
	v_add_co_u32_e64 v13, s[0:1], 1, v4
	v_addc_co_u32_e64 v14, s[0:1], 0, v9, s[0:1]
	v_subb_co_u32_e32 v8, vcc, v6, v8, vcc
	v_cmp_ne_u32_e64 s[0:1], 0, v10
	v_cmp_le_u32_e32 vcc, s21, v8
	v_cndmask_b32_e64 v10, v14, v12, s[0:1]
	v_cndmask_b32_e64 v12, 0, -1, vcc
	v_cmp_le_u32_e32 vcc, s20, v7
	v_cndmask_b32_e64 v7, 0, -1, vcc
	v_cmp_eq_u32_e32 vcc, s21, v8
	v_cndmask_b32_e32 v7, v12, v7, vcc
	v_cmp_ne_u32_e32 vcc, 0, v7
	v_cndmask_b32_e64 v7, v13, v11, s[0:1]
	v_cndmask_b32_e32 v8, v9, v10, vcc
	v_cndmask_b32_e32 v7, v4, v7, vcc
.LBB0_4:                                ;   in Loop: Header=BB0_2 Depth=1
	s_andn2_saveexec_b64 s[0:1], s[22:23]
	s_cbranch_execz .LBB0_6
; %bb.5:                                ;   in Loop: Header=BB0_2 Depth=1
	v_cvt_f32_u32_e32 v4, s20
	s_sub_i32 s22, 0, s20
	v_rcp_iflag_f32_e32 v4, v4
	v_mul_f32_e32 v4, 0x4f7ffffe, v4
	v_cvt_u32_f32_e32 v4, v4
	v_mul_lo_u32 v7, s22, v4
	v_mul_hi_u32 v7, v4, v7
	v_add_u32_e32 v4, v4, v7
	v_mul_hi_u32 v4, v5, v4
	v_mul_lo_u32 v7, v4, s20
	v_add_u32_e32 v8, 1, v4
	v_sub_u32_e32 v7, v5, v7
	v_subrev_u32_e32 v9, s20, v7
	v_cmp_le_u32_e32 vcc, s20, v7
	v_cndmask_b32_e32 v7, v7, v9, vcc
	v_cndmask_b32_e32 v4, v4, v8, vcc
	v_add_u32_e32 v8, 1, v4
	v_cmp_le_u32_e32 vcc, s20, v7
	v_cndmask_b32_e32 v7, v4, v8, vcc
	v_mov_b32_e32 v8, v3
.LBB0_6:                                ;   in Loop: Header=BB0_2 Depth=1
	s_or_b64 exec, exec, s[0:1]
	v_mul_lo_u32 v4, v8, s20
	v_mul_lo_u32 v11, v7, s21
	v_mad_u64_u32 v[9:10], s[0:1], v7, s20, 0
	s_load_dwordx2 s[0:1], s[6:7], 0x0
	s_add_u32 s18, s18, 1
	v_add3_u32 v4, v10, v11, v4
	v_sub_co_u32_e32 v5, vcc, v5, v9
	v_subb_co_u32_e32 v4, vcc, v6, v4, vcc
	s_waitcnt lgkmcnt(0)
	v_mul_lo_u32 v4, s0, v4
	v_mul_lo_u32 v6, s1, v5
	v_mad_u64_u32 v[1:2], s[0:1], s0, v5, v[1:2]
	s_addc_u32 s19, s19, 0
	s_add_u32 s6, s6, 8
	v_add3_u32 v2, v6, v2, v4
	v_mov_b32_e32 v4, s10
	v_mov_b32_e32 v5, s11
	s_addc_u32 s7, s7, 0
	v_cmp_ge_u64_e32 vcc, s[18:19], v[4:5]
	s_add_u32 s16, s16, 8
	s_addc_u32 s17, s17, 0
	s_cbranch_vccnz .LBB0_9
; %bb.7:                                ;   in Loop: Header=BB0_2 Depth=1
	v_mov_b32_e32 v5, v7
	v_mov_b32_e32 v6, v8
	s_branch .LBB0_2
.LBB0_8:
	v_mov_b32_e32 v8, v6
	v_mov_b32_e32 v7, v5
.LBB0_9:
	s_lshl_b64 s[0:1], s[10:11], 3
	s_add_u32 s0, s2, s0
	s_addc_u32 s1, s3, s1
	s_load_dwordx2 s[2:3], s[0:1], 0x0
	s_load_dwordx2 s[6:7], s[4:5], 0x20
                                        ; implicit-def: $vgpr16_vgpr17
                                        ; implicit-def: $vgpr10_vgpr11
                                        ; implicit-def: $vgpr24_vgpr25
                                        ; implicit-def: $vgpr28_vgpr29
                                        ; implicit-def: $vgpr32_vgpr33
                                        ; implicit-def: $vgpr36_vgpr37
                                        ; implicit-def: $vgpr40_vgpr41
                                        ; implicit-def: $vgpr44_vgpr45
                                        ; implicit-def: $vgpr48_vgpr49
                                        ; implicit-def: $vgpr52_vgpr53
                                        ; implicit-def: $vgpr56_vgpr57
                                        ; implicit-def: $vgpr60_vgpr61
                                        ; implicit-def: $vgpr64_vgpr65
                                        ; implicit-def: $vgpr68_vgpr69
                                        ; implicit-def: $vgpr72_vgpr73
                                        ; implicit-def: $vgpr20_vgpr21
	s_waitcnt lgkmcnt(0)
	v_mad_u64_u32 v[1:2], s[0:1], s2, v7, v[1:2]
	s_mov_b32 s0, 0x2828283
	v_mul_lo_u32 v3, s2, v8
	v_mul_lo_u32 v4, s3, v7
	v_mul_hi_u32 v5, v0, s0
	v_cmp_gt_u64_e32 vcc, s[6:7], v[7:8]
	s_movk_i32 s0, 0x5a
	v_add3_u32 v2, v4, v2, v3
	v_mul_u32_u24_e32 v3, 0x66, v5
	v_sub_u32_e32 v168, v0, v3
	v_cmp_gt_u32_e64 s[0:1], s0, v168
	v_lshlrev_b64 v[102:103], 4, v[1:2]
	s_and_b64 s[2:3], vcc, s[0:1]
                                        ; implicit-def: $vgpr4_vgpr5
	s_and_saveexec_b64 s[4:5], s[2:3]
	s_cbranch_execz .LBB0_11
; %bb.10:
	v_mad_u64_u32 v[0:1], s[2:3], s12, v168, 0
	v_add_u32_e32 v5, 0x5a, v168
	v_mov_b32_e32 v4, s15
	v_mad_u64_u32 v[1:2], s[2:3], s13, v168, v[1:2]
	v_mad_u64_u32 v[2:3], s[2:3], s12, v5, 0
	v_add_co_u32_e64 v18, s[2:3], s14, v102
	v_addc_co_u32_e64 v19, s[2:3], v4, v103, s[2:3]
	v_mad_u64_u32 v[3:4], s[2:3], s13, v5, v[3:4]
	v_add_u32_e32 v6, 0xb4, v168
	v_mad_u64_u32 v[4:5], s[2:3], s12, v6, 0
	v_lshlrev_b64 v[0:1], 4, v[0:1]
	v_add_u32_e32 v8, 0x10e, v168
	v_add_co_u32_e64 v0, s[2:3], v18, v0
	v_addc_co_u32_e64 v1, s[2:3], v19, v1, s[2:3]
	v_mad_u64_u32 v[5:6], s[2:3], s13, v6, v[5:6]
	v_mad_u64_u32 v[6:7], s[2:3], s12, v8, 0
	v_lshlrev_b64 v[2:3], 4, v[2:3]
	v_add_u32_e32 v10, 0x168, v168
	v_add_co_u32_e64 v2, s[2:3], v18, v2
	v_addc_co_u32_e64 v3, s[2:3], v19, v3, s[2:3]
	v_mad_u64_u32 v[7:8], s[2:3], s13, v8, v[7:8]
	;; [unrolled: 6-line block ×4, first 2 shown]
	v_mad_u64_u32 v[12:13], s[2:3], s12, v16, 0
	v_lshlrev_b64 v[8:9], 4, v[8:9]
	v_add_co_u32_e64 v14, s[2:3], v18, v8
	v_addc_co_u32_e64 v15, s[2:3], v19, v9, s[2:3]
	v_lshlrev_b64 v[8:9], 4, v[10:11]
	v_mov_b32_e32 v10, v13
	v_mad_u64_u32 v[10:11], s[2:3], s13, v16, v[10:11]
	v_add_u32_e32 v11, 0x276, v168
	v_mad_u64_u32 v[16:17], s[2:3], s12, v11, 0
	v_add_co_u32_e64 v74, s[2:3], v18, v8
	v_mov_b32_e32 v13, v10
	v_mov_b32_e32 v10, v17
	v_addc_co_u32_e64 v75, s[2:3], v19, v9, s[2:3]
	v_lshlrev_b64 v[8:9], 4, v[12:13]
	v_mad_u64_u32 v[10:11], s[2:3], s13, v11, v[10:11]
	v_add_u32_e32 v13, 0x2d0, v168
	v_mad_u64_u32 v[11:12], s[2:3], s12, v13, 0
	v_add_co_u32_e64 v76, s[2:3], v18, v8
	v_mov_b32_e32 v17, v10
	v_mov_b32_e32 v10, v12
	v_addc_co_u32_e64 v77, s[2:3], v19, v9, s[2:3]
	v_mad_u64_u32 v[12:13], s[2:3], s13, v13, v[10:11]
	v_add_u32_e32 v13, 0x32a, v168
	v_lshlrev_b64 v[8:9], 4, v[16:17]
	v_mad_u64_u32 v[16:17], s[2:3], s12, v13, 0
	v_add_co_u32_e64 v78, s[2:3], v18, v8
	v_mov_b32_e32 v10, v17
	v_addc_co_u32_e64 v79, s[2:3], v19, v9, s[2:3]
	v_lshlrev_b64 v[8:9], 4, v[11:12]
	v_mad_u64_u32 v[10:11], s[2:3], s13, v13, v[10:11]
	v_add_u32_e32 v13, 0x384, v168
	v_mad_u64_u32 v[11:12], s[2:3], s12, v13, 0
	v_add_co_u32_e64 v80, s[2:3], v18, v8
	v_mov_b32_e32 v17, v10
	v_mov_b32_e32 v10, v12
	v_addc_co_u32_e64 v81, s[2:3], v19, v9, s[2:3]
	v_mad_u64_u32 v[12:13], s[2:3], s13, v13, v[10:11]
	v_add_u32_e32 v13, 0x3de, v168
	v_lshlrev_b64 v[8:9], 4, v[16:17]
	v_mad_u64_u32 v[16:17], s[2:3], s12, v13, 0
	v_add_co_u32_e64 v82, s[2:3], v18, v8
	;; [unrolled: 15-line block ×4, first 2 shown]
	v_mov_b32_e32 v10, v17
	v_addc_co_u32_e64 v91, s[2:3], v19, v9, s[2:3]
	v_lshlrev_b64 v[8:9], 4, v[11:12]
	v_mad_u64_u32 v[10:11], s[2:3], s13, v13, v[10:11]
	v_add_u32_e32 v13, 0x5a0, v168
	v_mad_u64_u32 v[11:12], s[2:3], s12, v13, 0
	v_add_co_u32_e64 v92, s[2:3], v18, v8
	v_mov_b32_e32 v17, v10
	v_mov_b32_e32 v10, v12
	v_addc_co_u32_e64 v93, s[2:3], v19, v9, s[2:3]
	v_mad_u64_u32 v[12:13], s[2:3], s13, v13, v[10:11]
	v_lshlrev_b64 v[8:9], 4, v[16:17]
	v_add_co_u32_e64 v94, s[2:3], v18, v8
	v_addc_co_u32_e64 v95, s[2:3], v19, v9, s[2:3]
	v_lshlrev_b64 v[8:9], 4, v[11:12]
	v_add_co_u32_e64 v12, s[2:3], v18, v8
	v_addc_co_u32_e64 v13, s[2:3], v19, v9, s[2:3]
	global_load_dwordx4 v[18:21], v[0:1], off
	global_load_dwordx4 v[70:73], v[2:3], off
	;; [unrolled: 1-line block ×15, first 2 shown]
                                        ; kill: killed $vgpr92 killed $vgpr93
                                        ; kill: killed $vgpr76 killed $vgpr77
                                        ; kill: killed $vgpr78 killed $vgpr79
                                        ; kill: killed $vgpr80 killed $vgpr81
                                        ; kill: killed $vgpr0 killed $vgpr1
                                        ; kill: killed $vgpr82 killed $vgpr83
                                        ; kill: killed $vgpr2 killed $vgpr3
                                        ; kill: killed $vgpr84 killed $vgpr85
                                        ; kill: killed $vgpr4 killed $vgpr5
                                        ; kill: killed $vgpr86 killed $vgpr87
                                        ; kill: killed $vgpr6 killed $vgpr7
                                        ; kill: killed $vgpr88 killed $vgpr89
                                        ; kill: killed $vgpr14 killed $vgpr15
                                        ; kill: killed $vgpr90 killed $vgpr91
                                        ; kill: killed $vgpr74 killed $vgpr75
	global_load_dwordx4 v[14:17], v[94:95], off
	global_load_dwordx4 v[2:5], v[12:13], off
.LBB0_11:
	s_or_b64 exec, exec, s[4:5]
	s_waitcnt vmcnt(0)
	v_add_f64 v[12:13], v[2:3], v[70:71]
	s_mov_b32 s2, 0x370991
	s_mov_b32 s3, 0x3fedd6d0
	v_add_f64 v[74:75], v[72:73], -v[4:5]
	v_add_f64 v[76:77], v[14:15], v[66:67]
	s_mov_b32 s24, 0x5d8e7cdc
	s_mov_b32 s4, 0x75d4884
	;; [unrolled: 1-line block ×3, first 2 shown]
	v_mul_f64 v[78:79], v[12:13], s[2:3]
	s_mov_b32 s5, 0x3fe7a5f6
	v_mul_f64 v[82:83], v[12:13], s[4:5]
	v_add_f64 v[86:87], v[68:69], -v[16:17]
	v_mul_f64 v[80:81], v[76:77], s[4:5]
	s_mov_b32 s28, 0x2a9d6da3
	s_mov_b32 s6, 0x3259b75e
	;; [unrolled: 1-line block ×3, first 2 shown]
	v_fma_f64 v[0:1], v[74:75], s[24:25], v[78:79]
	s_mov_b32 s7, 0x3fb79ee6
	v_mul_f64 v[84:85], v[76:77], s[6:7]
	v_fma_f64 v[6:7], v[74:75], s[28:29], v[82:83]
	v_add_f64 v[88:89], v[8:9], v[62:63]
	v_fma_f64 v[92:93], v[86:87], s[28:29], v[80:81]
	s_mov_b32 s26, 0xeb564b22
	s_mov_b32 s10, 0x2b2883cd
	v_add_f64 v[0:1], v[18:19], v[0:1]
	s_mov_b32 s27, 0xbfefdd0d
	s_mov_b32 s11, 0x3fdc86fa
	v_fma_f64 v[94:95], v[86:87], s[26:27], v[84:85]
	v_add_f64 v[6:7], v[18:19], v[6:7]
	v_add_f64 v[96:97], v[64:65], -v[10:11]
	v_mul_f64 v[90:91], v[88:89], s[10:11]
	s_mov_b32 s16, 0x6ed5f1bb
	v_add_f64 v[0:1], v[92:93], v[0:1]
	v_add_f64 v[92:93], v[22:23], v[58:59]
	s_mov_b32 s36, 0x7c9e640b
	s_mov_b32 s17, 0xbfe348c8
	;; [unrolled: 1-line block ×3, first 2 shown]
	v_add_f64 v[6:7], v[94:95], v[6:7]
	v_mul_f64 v[98:99], v[88:89], s[16:17]
	v_fma_f64 v[100:101], v[96:97], s[36:37], v[90:91]
	v_add_f64 v[108:109], v[60:61], -v[24:25]
	v_mul_f64 v[94:95], v[92:93], s[6:7]
	s_mov_b32 s30, 0x6c9a05f6
	s_mov_b32 s18, 0x7faef3
	;; [unrolled: 1-line block ×4, first 2 shown]
	v_fma_f64 v[104:105], v[96:97], s[30:31], v[98:99]
	v_add_f64 v[0:1], v[100:101], v[0:1]
	v_add_f64 v[100:101], v[26:27], v[54:55]
	v_fma_f64 v[110:111], v[108:109], s[26:27], v[94:95]
	v_mul_f64 v[106:107], v[92:93], s[18:19]
	s_mov_b32 s20, 0xc61f0d01
	s_mov_b32 s34, 0xacd6c6b4
	s_mov_b32 s22, 0x910ea3b9
	s_mov_b32 s21, 0xbfd183b1
	s_mov_b32 s35, 0xbfc7851a
	s_mov_b32 s23, 0xbfeb34fa
	v_add_f64 v[6:7], v[104:105], v[6:7]
	v_add_f64 v[0:1], v[110:111], v[0:1]
	v_add_f64 v[124:125], v[56:57], -v[28:29]
	v_mul_f64 v[104:105], v[100:101], s[20:21]
	v_fma_f64 v[114:115], v[108:109], s[34:35], v[106:107]
	v_mul_f64 v[110:111], v[100:101], s[22:23]
	v_add_f64 v[112:113], v[30:31], v[50:51]
	s_mov_b32 s38, 0x923c349f
	s_mov_b32 s40, 0x4363dd80
	;; [unrolled: 1-line block ×4, first 2 shown]
	v_fma_f64 v[118:119], v[124:125], s[38:39], v[104:105]
	v_add_f64 v[6:7], v[114:115], v[6:7]
	v_fma_f64 v[120:121], v[124:125], s[40:41], v[110:111]
	v_add_f64 v[132:133], v[52:53], -v[32:33]
	v_mul_f64 v[114:115], v[112:113], s[16:17]
	v_mul_f64 v[116:117], v[112:113], s[20:21]
	s_mov_b32 s43, 0x3feec746
	s_mov_b32 s42, s38
	v_add_f64 v[0:1], v[118:119], v[0:1]
	v_add_f64 v[118:119], v[34:35], v[46:47]
	;; [unrolled: 1-line block ×3, first 2 shown]
	v_add_f64 v[134:135], v[48:49], -v[36:37]
	v_fma_f64 v[120:121], v[132:133], s[30:31], v[114:115]
	v_fma_f64 v[128:129], v[132:133], s[42:43], v[116:117]
	s_mov_b32 s45, 0xbfe0d888
	s_mov_b32 s44, s40
	;; [unrolled: 1-line block ×3, first 2 shown]
	v_mul_f64 v[122:123], v[118:119], s[22:23]
	v_mul_f64 v[126:127], v[118:119], s[10:11]
	s_mov_b32 s46, s36
	v_add_f64 v[0:1], v[120:121], v[0:1]
	v_add_f64 v[120:121], v[38:39], v[42:43]
	;; [unrolled: 1-line block ×3, first 2 shown]
	v_add_f64 v[142:143], v[44:45], -v[40:41]
	s_mov_b32 s49, 0x3fd71e95
	v_fma_f64 v[136:137], v[134:135], s[44:45], v[122:123]
	v_fma_f64 v[138:139], v[134:135], s[46:47], v[126:127]
	s_mov_b32 s48, s24
	v_mul_f64 v[128:129], v[120:121], s[18:19]
	v_mul_f64 v[130:131], v[120:121], s[2:3]
	v_add_f64 v[0:1], v[136:137], v[0:1]
	v_add_f64 v[6:7], v[138:139], v[6:7]
	v_fma_f64 v[136:137], v[142:143], s[34:35], v[128:129]
	v_fma_f64 v[138:139], v[142:143], s[48:49], v[130:131]
	v_add_f64 v[0:1], v[136:137], v[0:1]
	v_add_f64 v[6:7], v[138:139], v[6:7]
	s_and_saveexec_b64 s[50:51], s[0:1]
	s_cbranch_execz .LBB0_13
; %bb.12:
	v_mul_f64 v[169:170], v[74:75], s[34:35]
	v_mul_f64 v[171:172], v[86:87], s[48:49]
	;; [unrolled: 1-line block ×4, first 2 shown]
	s_mov_b32 s53, 0x3fe58eea
	s_mov_b32 s52, s28
	v_mul_f64 v[179:180], v[108:109], s[52:53]
	v_mul_f64 v[189:190], v[86:87], s[46:47]
	v_fma_f64 v[173:174], v[12:13], s[18:19], v[169:170]
	v_fma_f64 v[177:178], v[76:77], s[2:3], v[171:172]
	;; [unrolled: 1-line block ×3, first 2 shown]
	v_fma_f64 v[169:170], v[12:13], s[18:19], -v[169:170]
	v_fma_f64 v[191:192], v[12:13], s[22:23], v[183:184]
	v_mul_f64 v[185:186], v[124:125], s[30:31]
	v_fma_f64 v[187:188], v[92:93], s[4:5], v[179:180]
	v_fma_f64 v[171:172], v[76:77], s[2:3], -v[171:172]
	v_add_f64 v[173:174], v[18:19], v[173:174]
	v_mul_f64 v[195:196], v[96:97], s[26:27]
	v_fma_f64 v[197:198], v[76:77], s[10:11], v[189:190]
	v_add_f64 v[169:170], v[18:19], v[169:170]
	v_add_f64 v[191:192], v[18:19], v[191:192]
	s_mov_b32 s55, 0x3fe9895b
	s_mov_b32 s54, s30
	v_fma_f64 v[193:194], v[100:101], s[16:17], v[185:186]
	v_add_f64 v[173:174], v[177:178], v[173:174]
	v_fma_f64 v[175:176], v[88:89], s[22:23], -v[175:176]
	v_mul_f64 v[177:178], v[134:135], s[38:39]
	v_add_f64 v[169:170], v[171:172], v[169:170]
	v_add_f64 v[191:192], v[197:198], v[191:192]
	v_mul_f64 v[197:198], v[124:125], s[24:25]
	v_fma_f64 v[185:186], v[100:101], s[16:17], -v[185:186]
	s_mov_b32 s57, 0x3fefdd0d
	v_add_f64 v[173:174], v[181:182], v[173:174]
	v_mul_f64 v[181:182], v[132:133], s[46:47]
	s_mov_b32 s56, s26
	v_add_f64 v[169:170], v[175:176], v[169:170]
	v_fma_f64 v[183:184], v[12:13], s[22:23], -v[183:184]
	v_fma_f64 v[201:202], v[100:101], s[2:3], v[197:198]
	v_mul_f64 v[203:204], v[74:75], s[30:31]
	v_fma_f64 v[189:190], v[76:77], s[10:11], -v[189:190]
	v_add_f64 v[171:172], v[187:188], v[173:174]
	v_fma_f64 v[173:174], v[92:93], s[4:5], -v[179:180]
	v_mul_f64 v[179:180], v[108:109], s[54:55]
	v_fma_f64 v[187:188], v[88:89], s[6:7], v[195:196]
	v_fma_f64 v[175:176], v[112:113], s[10:11], v[181:182]
	v_fma_f64 v[181:182], v[112:113], s[10:11], -v[181:182]
	v_add_f64 v[183:184], v[18:19], v[183:184]
	v_fma_f64 v[195:196], v[88:89], s[6:7], -v[195:196]
	v_add_f64 v[171:172], v[193:194], v[171:172]
	v_add_f64 v[169:170], v[173:174], v[169:170]
	v_fma_f64 v[199:200], v[92:93], s[16:17], v[179:180]
	v_add_f64 v[187:188], v[187:188], v[191:192]
	v_fma_f64 v[173:174], v[118:119], s[20:21], v[177:178]
	v_mul_f64 v[191:192], v[132:133], s[34:35]
	v_mul_f64 v[193:194], v[142:143], s[56:57]
	v_fma_f64 v[177:178], v[118:119], s[20:21], -v[177:178]
	v_add_f64 v[171:172], v[175:176], v[171:172]
	v_add_f64 v[169:170], v[185:186], v[169:170]
	;; [unrolled: 1-line block ×4, first 2 shown]
	v_fma_f64 v[179:180], v[92:93], s[16:17], -v[179:180]
	v_fma_f64 v[199:200], v[112:113], s[18:19], v[191:192]
	v_fma_f64 v[185:186], v[120:121], s[6:7], v[193:194]
	v_fma_f64 v[191:192], v[112:113], s[18:19], -v[191:192]
	v_add_f64 v[171:172], v[173:174], v[171:172]
	v_mul_f64 v[173:174], v[134:135], s[52:53]
	v_add_f64 v[169:170], v[181:182], v[169:170]
	v_add_f64 v[187:188], v[201:202], v[187:188]
	v_fma_f64 v[181:182], v[120:121], s[6:7], -v[193:194]
	v_mul_f64 v[193:194], v[142:143], s[38:39]
	v_add_f64 v[183:184], v[195:196], v[183:184]
	v_mul_f64 v[195:196], v[108:109], s[44:45]
	v_add_f64 v[171:172], v[185:186], v[171:172]
	v_fma_f64 v[201:202], v[118:119], s[4:5], v[173:174]
	v_add_f64 v[169:170], v[177:178], v[169:170]
	v_add_f64 v[187:188], v[199:200], v[187:188]
	v_mul_f64 v[185:186], v[86:87], s[42:43]
	v_fma_f64 v[199:200], v[12:13], s[16:17], v[203:204]
	v_fma_f64 v[177:178], v[120:121], s[20:21], v[193:194]
	v_add_f64 v[179:180], v[179:180], v[183:184]
	v_fma_f64 v[183:184], v[120:121], s[20:21], -v[193:194]
	v_mul_f64 v[193:194], v[124:125], s[56:57]
	v_add_f64 v[169:170], v[181:182], v[169:170]
	v_add_f64 v[187:188], v[201:202], v[187:188]
	v_fma_f64 v[201:202], v[12:13], s[16:17], -v[203:204]
	v_mul_f64 v[181:182], v[96:97], s[24:25]
	v_fma_f64 v[189:190], v[76:77], s[20:21], v[185:186]
	v_add_f64 v[199:200], v[18:19], v[199:200]
	v_fma_f64 v[185:186], v[76:77], s[20:21], -v[185:186]
	v_fma_f64 v[173:174], v[118:119], s[4:5], -v[173:174]
	v_mul_f64 v[205:206], v[96:97], s[52:53]
	v_add_f64 v[177:178], v[177:178], v[187:188]
	v_add_f64 v[201:202], v[18:19], v[201:202]
	v_fma_f64 v[187:188], v[100:101], s[2:3], -v[197:198]
	v_fma_f64 v[197:198], v[88:89], s[2:3], v[181:182]
	v_add_f64 v[189:190], v[189:190], v[199:200]
	v_fma_f64 v[181:182], v[88:89], s[2:3], -v[181:182]
	v_fma_f64 v[199:200], v[92:93], s[22:23], v[195:196]
	v_fma_f64 v[195:196], v[92:93], s[22:23], -v[195:196]
	v_mul_f64 v[150:151], v[74:75], s[24:25]
	v_add_f64 v[185:186], v[185:186], v[201:202]
	v_mul_f64 v[201:202], v[74:75], s[38:39]
	v_add_f64 v[179:180], v[187:188], v[179:180]
	v_add_f64 v[189:190], v[197:198], v[189:190]
	v_mul_f64 v[187:188], v[132:133], s[28:29]
	v_fma_f64 v[197:198], v[100:101], s[6:7], v[193:194]
	v_fma_f64 v[193:194], v[100:101], s[6:7], -v[193:194]
	v_mul_f64 v[146:147], v[74:75], s[28:29]
	v_add_f64 v[181:182], v[181:182], v[185:186]
	v_fma_f64 v[203:204], v[12:13], s[20:21], v[201:202]
	v_add_f64 v[179:180], v[191:192], v[179:180]
	v_add_f64 v[185:186], v[199:200], v[189:190]
	v_mul_f64 v[199:200], v[86:87], s[40:41]
	v_mul_f64 v[189:190], v[134:135], s[34:35]
	v_fma_f64 v[191:192], v[112:113], s[4:5], v[187:188]
	v_fma_f64 v[187:188], v[112:113], s[4:5], -v[187:188]
	v_add_f64 v[181:182], v[195:196], v[181:182]
	v_add_f64 v[203:204], v[18:19], v[203:204]
	v_mul_f64 v[195:196], v[142:143], s[46:47]
	v_add_f64 v[185:186], v[197:198], v[185:186]
	v_fma_f64 v[207:208], v[76:77], s[22:23], v[199:200]
	v_fma_f64 v[197:198], v[118:119], s[18:19], v[189:190]
	v_add_f64 v[173:174], v[173:174], v[179:180]
	v_fma_f64 v[189:190], v[118:119], s[18:19], -v[189:190]
	v_add_f64 v[181:182], v[193:194], v[181:182]
	v_fma_f64 v[193:194], v[88:89], s[4:5], v[205:206]
	v_fma_f64 v[179:180], v[120:121], s[10:11], v[195:196]
	v_add_f64 v[185:186], v[191:192], v[185:186]
	v_mul_f64 v[191:192], v[108:109], s[36:37]
	v_add_f64 v[203:204], v[207:208], v[203:204]
	v_add_f64 v[173:174], v[183:184], v[173:174]
	v_fma_f64 v[183:184], v[12:13], s[20:21], -v[201:202]
	v_add_f64 v[181:182], v[187:188], v[181:182]
	v_mul_f64 v[187:188], v[124:125], s[34:35]
	v_fma_f64 v[195:196], v[120:121], s[10:11], -v[195:196]
	v_add_f64 v[185:186], v[197:198], v[185:186]
	v_fma_f64 v[197:198], v[92:93], s[10:11], v[191:192]
	v_add_f64 v[193:194], v[193:194], v[203:204]
	v_fma_f64 v[201:202], v[88:89], s[4:5], -v[205:206]
	v_add_f64 v[183:184], v[18:19], v[183:184]
	v_add_f64 v[181:182], v[189:190], v[181:182]
	v_mul_f64 v[189:190], v[132:133], s[56:57]
	v_mul_f64 v[205:206], v[86:87], s[34:35]
	v_add_f64 v[179:180], v[179:180], v[185:186]
	v_fma_f64 v[185:186], v[76:77], s[22:23], -v[199:200]
	v_fma_f64 v[199:200], v[100:101], s[18:19], v[187:188]
	v_add_f64 v[193:194], v[197:198], v[193:194]
	v_fma_f64 v[191:192], v[92:93], s[10:11], -v[191:192]
	v_add_f64 v[181:182], v[195:196], v[181:182]
	v_mul_f64 v[195:196], v[74:75], s[26:27]
	v_fma_f64 v[203:204], v[112:113], s[6:7], v[189:190]
	v_fma_f64 v[209:210], v[76:77], s[18:19], v[205:206]
	v_add_f64 v[183:184], v[185:186], v[183:184]
	v_fma_f64 v[187:188], v[100:101], s[18:19], -v[187:188]
	v_add_f64 v[193:194], v[199:200], v[193:194]
	v_mul_f64 v[197:198], v[142:143], s[30:31]
	v_mul_f64 v[185:186], v[134:135], s[24:25]
	v_fma_f64 v[207:208], v[12:13], s[6:7], v[195:196]
	v_fma_f64 v[195:196], v[12:13], s[6:7], -v[195:196]
	v_fma_f64 v[189:190], v[112:113], s[6:7], -v[189:190]
	v_add_f64 v[183:184], v[201:202], v[183:184]
	v_mul_f64 v[74:75], v[74:75], s[36:37]
	v_add_f64 v[193:194], v[203:204], v[193:194]
	v_mul_f64 v[203:204], v[96:97], s[42:43]
	v_fma_f64 v[199:200], v[120:121], s[16:17], v[197:198]
	v_add_f64 v[207:208], v[18:19], v[207:208]
	v_add_f64 v[195:196], v[18:19], v[195:196]
	v_fma_f64 v[201:202], v[118:119], s[2:3], v[185:186]
	v_add_f64 v[183:184], v[191:192], v[183:184]
	v_fma_f64 v[191:192], v[76:77], s[18:19], -v[205:206]
	v_mul_f64 v[205:206], v[108:109], s[48:49]
	v_fma_f64 v[211:212], v[88:89], s[20:21], v[203:204]
	v_fma_f64 v[185:186], v[118:119], s[2:3], -v[185:186]
	v_add_f64 v[207:208], v[209:210], v[207:208]
	v_add_f64 v[209:210], v[70:71], v[18:19]
	;; [unrolled: 1-line block ×4, first 2 shown]
	v_fma_f64 v[187:188], v[88:89], s[20:21], -v[203:204]
	v_add_f64 v[191:192], v[191:192], v[195:196]
	v_mul_f64 v[195:196], v[124:125], s[36:37]
	v_fma_f64 v[203:204], v[92:93], s[2:3], v[205:206]
	v_add_f64 v[207:208], v[211:212], v[207:208]
	v_add_f64 v[209:210], v[66:67], v[209:210]
	v_mul_f64 v[140:141], v[86:87], s[28:29]
	v_add_f64 v[183:184], v[189:190], v[183:184]
	v_fma_f64 v[189:190], v[92:93], s[2:3], -v[205:206]
	v_add_f64 v[187:188], v[187:188], v[191:192]
	v_fma_f64 v[191:192], v[120:121], s[16:17], -v[197:198]
	v_mul_f64 v[197:198], v[132:133], s[44:45]
	v_fma_f64 v[205:206], v[100:101], s[10:11], v[195:196]
	v_add_f64 v[203:204], v[203:204], v[207:208]
	v_add_f64 v[207:208], v[62:63], v[209:210]
	;; [unrolled: 1-line block ×3, first 2 shown]
	v_fma_f64 v[185:186], v[100:101], s[10:11], -v[195:196]
	v_add_f64 v[187:188], v[189:190], v[187:188]
	v_mul_f64 v[144:145], v[86:87], s[26:27]
	v_fma_f64 v[209:210], v[112:113], s[22:23], v[197:198]
	v_fma_f64 v[197:198], v[112:113], s[22:23], -v[197:198]
	v_add_f64 v[203:204], v[205:206], v[203:204]
	v_add_f64 v[205:206], v[58:59], v[207:208]
	v_mul_f64 v[86:87], v[86:87], s[30:31]
	v_add_f64 v[78:79], v[78:79], -v[150:151]
	v_add_f64 v[185:186], v[185:186], v[187:188]
	v_fma_f64 v[211:212], v[12:13], s[10:11], -v[74:75]
	v_add_f64 v[82:83], v[82:83], -v[146:147]
	v_mul_f64 v[158:159], v[124:125], s[38:39]
	v_add_f64 v[201:202], v[209:210], v[203:204]
	v_add_f64 v[203:204], v[54:55], v[205:206]
	v_mul_f64 v[160:161], v[124:125], s[40:41]
	v_mul_f64 v[189:190], v[142:143], s[52:53]
	v_add_f64 v[185:186], v[197:198], v[185:186]
	v_mul_f64 v[124:125], v[124:125], s[52:53]
	s_mov_b32 s53, 0x3fc7851a
	s_mov_b32 s52, s34
	v_fma_f64 v[12:13], v[12:13], s[10:11], v[74:75]
	v_add_f64 v[197:198], v[50:51], v[203:204]
	v_mul_f64 v[136:137], v[96:97], s[36:37]
	v_mul_f64 v[166:167], v[96:97], s[30:31]
	;; [unrolled: 1-line block ×3, first 2 shown]
	v_fma_f64 v[215:216], v[76:77], s[16:17], v[86:87]
	v_fma_f64 v[74:75], v[76:77], s[16:17], -v[86:87]
	v_add_f64 v[80:81], v[80:81], -v[140:141]
	v_add_f64 v[78:79], v[18:19], v[78:79]
	v_add_f64 v[197:198], v[46:47], v[197:198]
	;; [unrolled: 1-line block ×3, first 2 shown]
	v_add_f64 v[84:85], v[84:85], -v[144:145]
	v_add_f64 v[82:83], v[18:19], v[82:83]
	v_add_f64 v[12:13], v[18:19], v[12:13]
	v_mul_f64 v[162:163], v[108:109], s[26:27]
	v_fma_f64 v[213:214], v[88:89], s[18:19], v[96:97]
	v_fma_f64 v[18:19], v[88:89], s[18:19], -v[96:97]
	v_add_f64 v[150:151], v[42:43], v[197:198]
	v_add_f64 v[88:89], v[90:91], -v[136:137]
	v_add_f64 v[78:79], v[80:81], v[78:79]
	v_mul_f64 v[164:165], v[108:109], s[34:35]
	v_mul_f64 v[108:109], v[108:109], s[42:43]
	v_add_f64 v[74:75], v[74:75], v[76:77]
	v_add_f64 v[76:77], v[98:99], -v[166:167]
	v_add_f64 v[82:83], v[84:85], v[82:83]
	v_add_f64 v[86:87], v[38:39], v[150:151]
	;; [unrolled: 1-line block ×4, first 2 shown]
	v_mul_f64 v[154:155], v[132:133], s[30:31]
	v_fma_f64 v[84:85], v[92:93], s[20:21], -v[108:109]
	v_add_f64 v[18:19], v[18:19], v[74:75]
	v_add_f64 v[74:75], v[106:107], -v[164:165]
	v_add_f64 v[76:77], v[76:77], v[82:83]
	v_add_f64 v[80:81], v[34:35], v[86:87]
	v_add_f64 v[86:87], v[94:95], -v[162:163]
	v_fma_f64 v[209:210], v[92:93], s[20:21], v[108:109]
	v_add_f64 v[12:13], v[213:214], v[12:13]
	v_add_f64 v[88:89], v[104:105], -v[158:159]
	v_mul_f64 v[156:157], v[132:133], s[42:43]
	v_mul_f64 v[132:133], v[132:133], s[24:25]
	v_fma_f64 v[82:83], v[100:101], s[4:5], -v[124:125]
	v_add_f64 v[80:81], v[30:31], v[80:81]
	v_add_f64 v[78:79], v[86:87], v[78:79]
	v_add_f64 v[18:19], v[84:85], v[18:19]
	v_add_f64 v[84:85], v[110:111], -v[160:161]
	v_add_f64 v[74:75], v[74:75], v[76:77]
	v_fma_f64 v[207:208], v[100:101], s[4:5], v[124:125]
	v_add_f64 v[12:13], v[209:210], v[12:13]
	v_mul_f64 v[148:149], v[134:135], s[44:45]
	v_add_f64 v[80:81], v[26:27], v[80:81]
	v_add_f64 v[86:87], v[114:115], -v[154:155]
	v_add_f64 v[78:79], v[88:89], v[78:79]
	v_mul_f64 v[152:153], v[134:135], s[46:47]
	v_mul_f64 v[195:196], v[134:135], s[54:55]
	;; [unrolled: 1-line block ×3, first 2 shown]
	v_fma_f64 v[76:77], v[112:113], s[2:3], -v[132:133]
	v_add_f64 v[18:19], v[82:83], v[18:19]
	v_add_f64 v[80:81], v[22:23], v[80:81]
	v_add_f64 v[82:83], v[116:117], -v[156:157]
	v_add_f64 v[74:75], v[84:85], v[74:75]
	v_fma_f64 v[205:206], v[112:113], s[2:3], v[132:133]
	v_add_f64 v[12:13], v[207:208], v[12:13]
	v_mul_f64 v[138:139], v[142:143], s[34:35]
	v_add_f64 v[88:89], v[122:123], -v[148:149]
	v_add_f64 v[78:79], v[86:87], v[78:79]
	v_add_f64 v[80:81], v[8:9], v[80:81]
	v_mul_f64 v[175:176], v[142:143], s[48:49]
	v_mul_f64 v[142:143], v[142:143], s[44:45]
	v_fma_f64 v[84:85], v[118:119], s[6:7], -v[134:135]
	v_add_f64 v[18:19], v[76:77], v[18:19]
	v_add_f64 v[76:77], v[126:127], -v[152:153]
	v_add_f64 v[74:75], v[82:83], v[74:75]
	v_add_f64 v[183:184], v[191:192], v[183:184]
	v_fma_f64 v[191:192], v[118:119], s[16:17], v[195:196]
	v_fma_f64 v[195:196], v[118:119], s[16:17], -v[195:196]
	v_fma_f64 v[203:204], v[118:119], s[6:7], v[134:135]
	v_add_f64 v[12:13], v[205:206], v[12:13]
	v_add_f64 v[86:87], v[128:129], -v[138:139]
	v_add_f64 v[78:79], v[88:89], v[78:79]
	v_add_f64 v[80:81], v[14:15], v[80:81]
	v_fma_f64 v[82:83], v[120:121], s[22:23], -v[142:143]
	v_add_f64 v[18:19], v[84:85], v[18:19]
	v_add_f64 v[84:85], v[130:131], -v[175:176]
	v_add_f64 v[74:75], v[76:77], v[74:75]
	v_fma_f64 v[187:188], v[120:121], s[4:5], v[189:190]
	v_fma_f64 v[189:190], v[120:121], s[4:5], -v[189:190]
	v_add_f64 v[76:77], v[195:196], v[185:186]
	v_add_f64 v[88:89], v[191:192], v[201:202]
	v_fma_f64 v[90:91], v[120:121], s[22:23], v[142:143]
	v_add_f64 v[12:13], v[203:204], v[12:13]
	v_add_f64 v[78:79], v[86:87], v[78:79]
	v_add_f64 v[80:81], v[2:3], v[80:81]
	v_add_f64 v[18:19], v[82:83], v[18:19]
	v_add_f64 v[74:75], v[84:85], v[74:75]
	v_add_f64 v[76:77], v[189:190], v[76:77]
	v_add_f64 v[82:83], v[199:200], v[193:194]
	v_add_f64 v[84:85], v[187:188], v[88:89]
	s_movk_i32 s33, 0x88
	v_add_f64 v[12:13], v[90:91], v[12:13]
	v_mad_u32_u24 v86, v168, s33, 0
	ds_write2_b64 v86, v[80:81], v[78:79] offset1:1
	ds_write2_b64 v86, v[74:75], v[18:19] offset0:2 offset1:3
	ds_write2_b64 v86, v[76:77], v[183:184] offset0:4 offset1:5
	;; [unrolled: 1-line block ×7, first 2 shown]
	ds_write_b64 v86, v[0:1] offset:128
.LBB0_13:
	s_or_b64 exec, exec, s[50:51]
	v_add_f64 v[136:137], v[70:71], -v[2:3]
	v_add_f64 v[130:131], v[4:5], v[72:73]
	v_add_f64 v[124:125], v[66:67], -v[14:15]
	v_add_f64 v[122:123], v[16:17], v[68:69]
	;; [unrolled: 2-line block ×4, first 2 shown]
	v_mul_f64 v[132:133], v[136:137], s[24:25]
	v_mul_f64 v[134:135], v[136:137], s[28:29]
	;; [unrolled: 1-line block ×6, first 2 shown]
	v_add_f64 v[66:67], v[54:55], -v[26:27]
	v_add_f64 v[50:51], v[50:51], -v[30:31]
	v_fma_f64 v[2:3], v[130:131], s[2:3], -v[132:133]
	v_fma_f64 v[8:9], v[130:131], s[4:5], -v[134:135]
	;; [unrolled: 1-line block ×4, first 2 shown]
	v_mul_f64 v[118:119], v[108:109], s[26:27]
	v_mul_f64 v[120:121], v[108:109], s[34:35]
	v_fma_f64 v[18:19], v[114:115], s[10:11], -v[126:127]
	v_fma_f64 v[30:31], v[114:115], s[16:17], -v[128:129]
	v_add_f64 v[2:3], v[20:21], v[2:3]
	v_add_f64 v[8:9], v[20:21], v[8:9]
	;; [unrolled: 1-line block ×3, first 2 shown]
	v_add_f64 v[26:27], v[46:47], -v[34:35]
	v_mul_f64 v[112:113], v[66:67], s[38:39]
	v_mul_f64 v[110:111], v[66:67], s[40:41]
	v_fma_f64 v[34:35], v[106:107], s[18:19], -v[120:121]
	v_add_f64 v[54:55], v[32:33], v[52:53]
	v_add_f64 v[2:3], v[12:13], v[2:3]
	;; [unrolled: 1-line block ×3, first 2 shown]
	v_fma_f64 v[14:15], v[106:107], s[6:7], -v[118:119]
	v_mul_f64 v[70:71], v[50:51], s[30:31]
	v_mul_f64 v[104:105], v[50:51], s[42:43]
	v_fma_f64 v[46:47], v[58:59], s[22:23], -v[110:111]
	v_add_f64 v[22:23], v[36:37], v[48:49]
	v_add_f64 v[12:13], v[40:41], v[44:45]
	;; [unrolled: 1-line block ×4, first 2 shown]
	v_fma_f64 v[30:31], v[58:59], s[20:21], -v[112:113]
	v_add_f64 v[18:19], v[42:43], -v[38:39]
	v_mul_f64 v[42:43], v[26:27], s[44:45]
	v_mul_f64 v[38:39], v[26:27], s[46:47]
	v_fma_f64 v[62:63], v[54:55], s[20:21], -v[104:105]
	v_lshl_add_u32 v142, v168, 3, 0
	v_add_f64 v[2:3], v[14:15], v[2:3]
	v_add_f64 v[8:9], v[34:35], v[8:9]
	v_fma_f64 v[14:15], v[54:55], s[16:17], -v[70:71]
	v_mul_f64 v[34:35], v[18:19], s[48:49]
	v_add_u32_e32 v146, 0x800, v142
	v_fma_f64 v[74:75], v[22:23], s[10:11], -v[38:39]
	s_waitcnt lgkmcnt(0)
	s_barrier
	v_add_f64 v[2:3], v[30:31], v[2:3]
	v_add_f64 v[8:9], v[46:47], v[8:9]
	v_mul_f64 v[30:31], v[18:19], s[34:35]
	v_fma_f64 v[46:47], v[22:23], s[22:23], -v[42:43]
	ds_read2_b64 v[78:81], v142 offset1:102
	v_add_u32_e32 v143, 0x1c00, v142
	v_add_u32_e32 v147, 0x1000, v142
	v_add_f64 v[2:3], v[14:15], v[2:3]
	v_add_f64 v[8:9], v[62:63], v[8:9]
	v_fma_f64 v[14:15], v[12:13], s[18:19], -v[30:31]
	v_fma_f64 v[62:63], v[12:13], s[2:3], -v[34:35]
	v_add_u32_e32 v145, 0x400, v142
	v_add_u32_e32 v144, 0x2400, v142
	;; [unrolled: 1-line block ×3, first 2 shown]
	v_add_f64 v[2:3], v[46:47], v[2:3]
	v_add_f64 v[46:47], v[74:75], v[8:9]
	ds_read2_b64 v[74:77], v146 offset0:152 offset1:254
	ds_read2_b64 v[98:101], v143 offset0:124 offset1:226
	;; [unrolled: 1-line block ×5, first 2 shown]
	v_add_f64 v[8:9], v[14:15], v[2:3]
	v_add_f64 v[14:15], v[62:63], v[46:47]
	ds_read2_b64 v[86:89], v148 offset0:48 offset1:150
	ds_read_b64 v[2:3], v142 offset:11424
	s_waitcnt lgkmcnt(0)
	s_barrier
	s_and_saveexec_b64 s[24:25], s[0:1]
	s_cbranch_execz .LBB0_15
; %bb.14:
	v_add_f64 v[46:47], v[72:73], v[20:21]
	v_mul_f64 v[155:156], v[114:115], s[16:17]
	v_mul_f64 v[165:166], v[54:55], s[16:17]
	s_mov_b32 s16, 0x6c9a05f6
	s_mov_b32 s17, 0xbfe9895b
	v_mul_f64 v[72:73], v[130:131], s[2:3]
	v_mul_f64 v[149:150], v[130:131], s[4:5]
	;; [unrolled: 1-line block ×3, first 2 shown]
	v_add_f64 v[46:47], v[68:69], v[46:47]
	v_mul_f64 v[153:154], v[122:123], s[6:7]
	v_mul_f64 v[68:69], v[114:115], s[10:11]
	;; [unrolled: 1-line block ×3, first 2 shown]
	s_mov_b32 s6, 0x6ed5f1bb
	s_mov_b32 s7, 0xbfe348c8
	;; [unrolled: 1-line block ×3, first 2 shown]
	v_add_f64 v[72:73], v[72:73], v[132:133]
	v_add_f64 v[169:170], v[64:65], v[46:47]
	v_mul_f64 v[64:65], v[22:23], s[10:11]
	s_mov_b32 s10, 0x923c349f
	s_mov_b32 s11, 0xbfeec746
	;; [unrolled: 1-line block ×3, first 2 shown]
	v_mul_f64 v[181:182], v[124:125], s[44:45]
	v_add_f64 v[132:133], v[149:150], v[134:135]
	v_add_f64 v[134:135], v[151:152], v[138:139]
	;; [unrolled: 1-line block ×3, first 2 shown]
	v_mul_f64 v[169:170], v[136:137], s[16:17]
	v_add_f64 v[138:139], v[153:154], v[140:141]
	v_mul_f64 v[161:162], v[58:59], s[20:21]
	v_mul_f64 v[163:164], v[58:59], s[22:23]
	;; [unrolled: 1-line block ×4, first 2 shown]
	s_mov_b32 s34, 0x7c9e640b
	v_add_f64 v[56:57], v[56:57], v[60:61]
	v_fma_f64 v[153:154], v[130:131], s[6:7], -v[169:170]
	s_mov_b32 s22, 0xeb564b22
	s_mov_b32 s4, 0xc61f0d01
	;; [unrolled: 1-line block ×6, first 2 shown]
	v_add_f64 v[52:53], v[52:53], v[56:57]
	s_mov_b32 s5, 0xbfd183b1
	s_mov_b32 s21, 0xbfe0d888
	;; [unrolled: 1-line block ×3, first 2 shown]
	v_mul_f64 v[56:57], v[136:137], s[22:23]
	v_mul_f64 v[60:61], v[136:137], s[10:11]
	;; [unrolled: 1-line block ×3, first 2 shown]
	v_fma_f64 v[185:186], v[122:123], s[4:5], v[181:182]
	v_add_f64 v[48:49], v[48:49], v[52:53]
	v_mul_f64 v[52:53], v[136:137], s[34:35]
	v_mul_f64 v[136:137], v[136:137], s[30:31]
	v_fma_f64 v[181:182], v[122:123], s[4:5], -v[181:182]
	v_mul_f64 v[159:160], v[106:107], s[18:19]
	v_mul_f64 v[46:47], v[12:13], s[18:19]
	v_mul_f64 v[62:63], v[12:13], s[2:3]
	s_mov_b32 s0, 0x2b2883cd
	v_add_f64 v[44:45], v[44:45], v[48:49]
	s_mov_b32 s2, 0x3259b75e
	s_mov_b32 s18, 0x910ea3b9
	;; [unrolled: 1-line block ×7, first 2 shown]
	v_add_f64 v[40:41], v[40:41], v[44:45]
	s_mov_b32 s29, 0xbfef7484
	s_mov_b32 s37, 0x3fe0d888
	;; [unrolled: 1-line block ×6, first 2 shown]
	v_mul_f64 v[48:49], v[124:125], s[16:17]
	v_add_f64 v[36:37], v[36:37], v[40:41]
	v_mul_f64 v[177:178], v[124:125], s[30:31]
	v_mul_f64 v[179:180], v[124:125], s[36:37]
	;; [unrolled: 1-line block ×3, first 2 shown]
	v_fma_f64 v[140:141], v[130:131], s[0:1], v[52:53]
	v_fma_f64 v[52:53], v[130:131], s[0:1], -v[52:53]
	v_fma_f64 v[40:41], v[130:131], s[2:3], v[56:57]
	v_fma_f64 v[56:57], v[130:131], s[2:3], -v[56:57]
	v_add_f64 v[32:33], v[32:33], v[36:37]
	v_fma_f64 v[149:150], v[130:131], s[4:5], v[60:61]
	v_fma_f64 v[60:61], v[130:131], s[4:5], -v[60:61]
	v_fma_f64 v[151:152], v[130:131], s[6:7], v[169:170]
	v_fma_f64 v[169:170], v[130:131], s[18:19], v[175:176]
	v_fma_f64 v[36:37], v[130:131], s[18:19], -v[175:176]
	v_fma_f64 v[175:176], v[130:131], s[28:29], v[136:137]
	v_fma_f64 v[130:131], v[130:131], s[28:29], -v[136:137]
	v_add_f64 v[28:29], v[28:29], v[32:33]
	v_add_f64 v[72:73], v[20:21], v[72:73]
	;; [unrolled: 1-line block ×3, first 2 shown]
	s_mov_b32 s40, 0x370991
	s_mov_b32 s37, 0x3fc7851a
	;; [unrolled: 1-line block ×4, first 2 shown]
	v_fma_f64 v[136:137], v[122:123], s[6:7], v[48:49]
	v_add_f64 v[24:25], v[24:25], v[28:29]
	v_fma_f64 v[48:49], v[122:123], s[6:7], -v[48:49]
	v_fma_f64 v[183:184], v[122:123], s[28:29], v[177:178]
	v_fma_f64 v[177:178], v[122:123], s[28:29], -v[177:178]
	v_fma_f64 v[32:33], v[122:123], s[18:19], v[179:180]
	;; [unrolled: 2-line block ×3, first 2 shown]
	v_add_f64 v[28:29], v[20:21], v[140:141]
	v_add_f64 v[10:11], v[10:11], v[24:25]
	v_add_f64 v[24:25], v[20:21], v[153:154]
	v_add_f64 v[52:53], v[20:21], v[52:53]
	v_add_f64 v[40:41], v[20:21], v[40:41]
	v_add_f64 v[56:57], v[20:21], v[56:57]
	v_add_f64 v[140:141], v[20:21], v[149:150]
	v_add_f64 v[60:61], v[20:21], v[60:61]
	v_add_f64 v[149:150], v[20:21], v[151:152]
	v_add_f64 v[10:11], v[16:17], v[10:11]
	v_add_f64 v[151:152], v[20:21], v[169:170]
	v_add_f64 v[36:37], v[20:21], v[36:37]
	v_add_f64 v[153:154], v[20:21], v[175:176]
	v_add_f64 v[20:21], v[20:21], v[130:131]
	v_add_f64 v[72:73], v[134:135], v[72:73]
	v_add_f64 v[130:131], v[138:139], v[132:133]
	v_fma_f64 v[44:45], v[122:123], s[0:1], -v[44:45]
	v_add_f64 v[4:5], v[4:5], v[10:11]
	v_add_f64 v[10:11], v[181:182], v[24:25]
	v_mul_f64 v[24:25], v[124:125], s[46:47]
	v_mul_f64 v[124:125], v[116:117], s[36:37]
	v_add_f64 v[68:69], v[68:69], v[126:127]
	s_mov_b32 s36, 0x2a9d6da3
	s_mov_b32 s37, 0x3fe58eea
	v_add_f64 v[16:17], v[136:137], v[28:29]
	v_add_f64 v[28:29], v[48:49], v[52:53]
	;; [unrolled: 1-line block ×3, first 2 shown]
	v_fma_f64 v[132:133], v[122:123], s[40:41], v[24:25]
	v_fma_f64 v[24:25], v[122:123], s[40:41], -v[24:25]
	v_add_f64 v[122:123], v[155:156], v[128:129]
	v_mul_f64 v[128:129], v[116:117], s[44:45]
	v_fma_f64 v[126:127], v[114:115], s[28:29], v[124:125]
	v_fma_f64 v[124:125], v[114:115], s[28:29], -v[124:125]
	s_mov_b32 s38, 0x75d4884
	s_mov_b32 s43, 0xbfd71e95
	;; [unrolled: 1-line block ×3, first 2 shown]
	v_add_f64 v[20:21], v[24:25], v[20:21]
	v_add_f64 v[24:25], v[68:69], v[72:73]
	;; [unrolled: 1-line block ×3, first 2 shown]
	v_fma_f64 v[72:73], v[114:115], s[4:5], v[128:129]
	v_mul_f64 v[122:123], v[116:117], s[36:37]
	s_mov_b32 s39, 0x3fe7a5f6
	v_add_f64 v[48:49], v[177:178], v[56:57]
	v_add_f64 v[52:53], v[179:180], v[60:61]
	;; [unrolled: 1-line block ×4, first 2 shown]
	v_mul_f64 v[124:125], v[116:117], s[42:43]
	v_fma_f64 v[126:127], v[114:115], s[4:5], -v[128:129]
	v_add_f64 v[40:41], v[72:73], v[40:41]
	v_mul_f64 v[72:73], v[116:117], s[22:23]
	v_fma_f64 v[128:129], v[114:115], s[38:39], v[122:123]
	v_fma_f64 v[122:123], v[114:115], s[38:39], -v[122:123]
	v_add_f64 v[36:37], v[44:45], v[36:37]
	v_mul_f64 v[116:117], v[116:117], s[20:21]
	v_fma_f64 v[130:131], v[114:115], s[40:41], v[124:125]
	v_add_f64 v[48:49], v[126:127], v[48:49]
	v_fma_f64 v[124:125], v[114:115], s[40:41], -v[124:125]
	v_fma_f64 v[126:127], v[114:115], s[2:3], v[72:73]
	v_fma_f64 v[72:73], v[114:115], s[2:3], -v[72:73]
	v_add_f64 v[52:53], v[122:123], v[52:53]
	v_mul_f64 v[122:123], v[108:109], s[44:45]
	v_add_f64 v[44:45], v[132:133], v[153:154]
	v_add_f64 v[32:33], v[32:33], v[140:141]
	s_mov_b32 s45, 0x3fe9895b
	v_add_f64 v[10:11], v[124:125], v[10:11]
	v_fma_f64 v[124:125], v[114:115], s[18:19], v[116:117]
	v_add_f64 v[36:37], v[72:73], v[36:37]
	v_fma_f64 v[72:73], v[114:115], s[18:19], -v[116:117]
	v_add_f64 v[114:115], v[157:158], v[118:119]
	v_add_f64 v[116:117], v[159:160], v[120:121]
	v_fma_f64 v[118:119], v[106:107], s[4:5], v[122:123]
	v_fma_f64 v[120:121], v[106:107], s[4:5], -v[122:123]
	v_mul_f64 v[122:123], v[108:109], s[46:47]
	v_add_f64 v[44:45], v[124:125], v[44:45]
	v_mul_f64 v[124:125], v[108:109], s[34:35]
	v_add_f64 v[20:21], v[72:73], v[20:21]
	s_mov_b32 s44, s16
	v_add_f64 v[56:57], v[185:186], v[149:150]
	v_add_f64 v[32:33], v[128:129], v[32:33]
	;; [unrolled: 1-line block ×3, first 2 shown]
	v_fma_f64 v[72:73], v[106:107], s[40:41], v[122:123]
	v_add_f64 v[68:69], v[116:117], v[68:69]
	v_add_f64 v[16:17], v[118:119], v[16:17]
	v_add_f64 v[28:29], v[120:121], v[28:29]
	v_fma_f64 v[114:115], v[106:107], s[40:41], -v[122:123]
	v_fma_f64 v[116:117], v[106:107], s[0:1], v[124:125]
	v_fma_f64 v[118:119], v[106:107], s[0:1], -v[124:125]
	v_mul_f64 v[120:121], v[108:109], s[20:21]
	v_mul_f64 v[122:123], v[108:109], s[44:45]
	v_add_f64 v[40:41], v[72:73], v[40:41]
	v_mul_f64 v[72:73], v[108:109], s[36:37]
	v_add_f64 v[60:61], v[187:188], v[151:152]
	v_add_f64 v[56:57], v[130:131], v[56:57]
	v_add_f64 v[48:49], v[114:115], v[48:49]
	v_add_f64 v[32:33], v[116:117], v[32:33]
	v_fma_f64 v[108:109], v[106:107], s[18:19], v[120:121]
	v_fma_f64 v[114:115], v[106:107], s[18:19], -v[120:121]
	v_add_f64 v[52:53], v[118:119], v[52:53]
	v_fma_f64 v[116:117], v[106:107], s[6:7], v[122:123]
	v_fma_f64 v[118:119], v[106:107], s[6:7], -v[122:123]
	v_fma_f64 v[120:121], v[106:107], s[38:39], v[72:73]
	v_fma_f64 v[72:73], v[106:107], s[38:39], -v[72:73]
	v_add_f64 v[106:107], v[161:162], v[112:113]
	v_add_f64 v[60:61], v[126:127], v[60:61]
	;; [unrolled: 1-line block ×3, first 2 shown]
	v_mul_f64 v[108:109], v[66:67], s[36:37]
	v_add_f64 v[10:11], v[114:115], v[10:11]
	v_mul_f64 v[112:113], v[66:67], s[30:31]
	v_add_f64 v[44:45], v[120:121], v[44:45]
	v_add_f64 v[20:21], v[72:73], v[20:21]
	;; [unrolled: 1-line block ×4, first 2 shown]
	v_mul_f64 v[106:107], v[66:67], s[34:35]
	s_mov_b32 s35, 0x3fefdd0d
	s_mov_b32 s34, s22
	v_add_f64 v[60:61], v[116:117], v[60:61]
	v_fma_f64 v[110:111], v[58:59], s[38:39], v[108:109]
	v_mul_f64 v[114:115], v[66:67], s[34:35]
	v_mul_f64 v[116:117], v[66:67], s[42:43]
	v_add_f64 v[68:69], v[72:73], v[68:69]
	v_fma_f64 v[72:73], v[58:59], s[0:1], v[106:107]
	v_fma_f64 v[106:107], v[58:59], s[0:1], -v[106:107]
	v_fma_f64 v[108:109], v[58:59], s[38:39], -v[108:109]
	v_mul_f64 v[66:67], v[66:67], s[16:17]
	v_add_f64 v[16:17], v[110:111], v[16:17]
	v_fma_f64 v[110:111], v[58:59], s[28:29], -v[112:113]
	s_mov_b32 s47, 0xbfe58eea
	s_mov_b32 s46, s36
	v_add_f64 v[40:41], v[72:73], v[40:41]
	v_add_f64 v[48:49], v[106:107], v[48:49]
	v_fma_f64 v[72:73], v[58:59], s[2:3], -v[114:115]
	v_fma_f64 v[106:107], v[58:59], s[40:41], v[116:117]
	v_add_f64 v[28:29], v[108:109], v[28:29]
	v_fma_f64 v[108:109], v[58:59], s[28:29], v[112:113]
	v_fma_f64 v[112:113], v[58:59], s[2:3], v[114:115]
	v_add_f64 v[52:53], v[110:111], v[52:53]
	v_fma_f64 v[110:111], v[58:59], s[40:41], -v[116:117]
	v_add_f64 v[36:37], v[118:119], v[36:37]
	v_add_f64 v[10:11], v[72:73], v[10:11]
	v_fma_f64 v[72:73], v[58:59], s[6:7], v[66:67]
	v_fma_f64 v[58:59], v[58:59], s[6:7], -v[66:67]
	v_add_f64 v[66:67], v[165:166], v[70:71]
	v_add_f64 v[70:71], v[171:172], v[104:105]
	;; [unrolled: 1-line block ×3, first 2 shown]
	v_mul_f64 v[106:107], v[50:51], s[20:21]
	v_add_f64 v[32:33], v[108:109], v[32:33]
	v_mul_f64 v[108:109], v[50:51], s[42:43]
	v_add_f64 v[44:45], v[72:73], v[44:45]
	v_add_f64 v[20:21], v[58:59], v[20:21]
	v_mul_f64 v[72:73], v[50:51], s[46:47]
	v_add_f64 v[58:59], v[70:71], v[68:69]
	v_add_f64 v[24:25], v[66:67], v[24:25]
	v_fma_f64 v[70:71], v[54:55], s[18:19], v[106:107]
	v_mul_f64 v[68:69], v[50:51], s[34:35]
	v_fma_f64 v[104:105], v[54:55], s[40:41], v[108:109]
	v_fma_f64 v[66:67], v[54:55], s[40:41], -v[108:109]
	v_add_f64 v[56:57], v[112:113], v[56:57]
	v_add_f64 v[36:37], v[110:111], v[36:37]
	;; [unrolled: 1-line block ×5, first 2 shown]
	v_fma_f64 v[70:71], v[54:55], s[38:39], v[72:73]
	v_add_f64 v[16:17], v[104:105], v[16:17]
	v_fma_f64 v[104:105], v[54:55], s[18:19], -v[106:107]
	v_add_f64 v[28:29], v[66:67], v[28:29]
	v_mul_f64 v[66:67], v[50:51], s[30:31]
	v_fma_f64 v[106:107], v[54:55], s[2:3], v[68:69]
	v_fma_f64 v[68:69], v[54:55], s[2:3], -v[68:69]
	v_mul_f64 v[50:51], v[50:51], s[26:27]
	v_add_f64 v[56:57], v[70:71], v[56:57]
	v_mul_f64 v[70:71], v[26:27], s[22:23]
	v_add_f64 v[48:49], v[104:105], v[48:49]
	v_fma_f64 v[72:73], v[54:55], s[38:39], -v[72:73]
	v_fma_f64 v[104:105], v[54:55], s[28:29], v[66:67]
	v_fma_f64 v[66:67], v[54:55], s[28:29], -v[66:67]
	v_add_f64 v[52:53], v[68:69], v[52:53]
	v_fma_f64 v[68:69], v[54:55], s[0:1], v[50:51]
	v_fma_f64 v[50:51], v[54:55], s[0:1], -v[50:51]
	v_fma_f64 v[54:55], v[22:23], s[2:3], v[70:71]
	v_mul_f64 v[64:65], v[26:27], s[44:45]
	v_add_f64 v[24:25], v[42:43], v[24:25]
	v_mul_f64 v[42:43], v[26:27], s[30:31]
	v_add_f64 v[36:37], v[66:67], v[36:37]
	v_fma_f64 v[66:67], v[22:23], s[2:3], -v[70:71]
	v_add_f64 v[44:45], v[68:69], v[44:45]
	v_add_f64 v[20:21], v[50:51], v[20:21]
	v_mul_f64 v[50:51], v[26:27], s[42:43]
	v_add_f64 v[16:17], v[54:55], v[16:17]
	v_fma_f64 v[54:55], v[22:23], s[6:7], v[64:65]
	v_mul_f64 v[68:69], v[26:27], s[36:37]
	v_add_f64 v[10:11], v[72:73], v[10:11]
	v_add_f64 v[38:39], v[38:39], v[58:59]
	v_add_f64 v[28:29], v[66:67], v[28:29]
	v_fma_f64 v[58:59], v[22:23], s[6:7], -v[64:65]
	v_fma_f64 v[64:65], v[22:23], s[40:41], v[50:51]
	v_fma_f64 v[50:51], v[22:23], s[40:41], -v[50:51]
	v_fma_f64 v[66:67], v[22:23], s[28:29], v[42:43]
	v_fma_f64 v[42:43], v[22:23], s[28:29], -v[42:43]
	v_mul_f64 v[26:27], v[26:27], s[10:11]
	v_add_f64 v[60:61], v[104:105], v[60:61]
	v_add_f64 v[40:41], v[54:55], v[40:41]
	v_fma_f64 v[54:55], v[22:23], s[38:39], v[68:69]
	v_add_f64 v[30:31], v[46:47], v[30:31]
	v_add_f64 v[50:51], v[50:51], v[52:53]
	;; [unrolled: 1-line block ×4, first 2 shown]
	v_fma_f64 v[42:43], v[22:23], s[38:39], -v[68:69]
	v_fma_f64 v[56:57], v[22:23], s[4:5], v[26:27]
	v_fma_f64 v[22:23], v[22:23], s[4:5], -v[26:27]
	v_mul_f64 v[26:27], v[18:19], s[20:21]
	v_add_f64 v[34:35], v[62:63], v[34:35]
	v_add_f64 v[46:47], v[54:55], v[60:61]
	v_mul_f64 v[54:55], v[18:19], s[36:37]
	v_add_f64 v[32:33], v[106:107], v[32:33]
	v_add_f64 v[48:49], v[58:59], v[48:49]
	;; [unrolled: 1-line block ×4, first 2 shown]
	v_fma_f64 v[22:23], v[12:13], s[18:19], v[26:27]
	v_add_f64 v[42:43], v[56:57], v[44:45]
	v_add_f64 v[24:25], v[30:31], v[24:25]
	;; [unrolled: 1-line block ×3, first 2 shown]
	v_fma_f64 v[26:27], v[12:13], s[18:19], -v[26:27]
	v_fma_f64 v[34:35], v[12:13], s[38:39], v[54:55]
	v_fma_f64 v[38:39], v[12:13], s[38:39], -v[54:55]
	v_mul_f64 v[44:45], v[18:19], s[16:17]
	v_mul_f64 v[54:55], v[18:19], s[26:27]
	v_add_f64 v[16:17], v[22:23], v[16:17]
	v_mul_f64 v[22:23], v[18:19], s[10:11]
	v_mul_f64 v[18:19], v[18:19], s[34:35]
	v_add_f64 v[32:33], v[64:65], v[32:33]
	v_add_f64 v[26:27], v[26:27], v[28:29]
	;; [unrolled: 1-line block ×4, first 2 shown]
	v_fma_f64 v[38:39], v[12:13], s[6:7], v[44:45]
	v_fma_f64 v[40:41], v[12:13], s[0:1], v[54:55]
	v_fma_f64 v[48:49], v[12:13], s[0:1], -v[54:55]
	v_fma_f64 v[54:55], v[12:13], s[4:5], v[22:23]
	v_fma_f64 v[56:57], v[12:13], s[2:3], v[18:19]
	v_fma_f64 v[18:19], v[12:13], s[2:3], -v[18:19]
	v_fma_f64 v[22:23], v[12:13], s[4:5], -v[22:23]
	;; [unrolled: 1-line block ×3, first 2 shown]
	v_add_f64 v[32:33], v[38:39], v[32:33]
	v_add_f64 v[38:39], v[40:41], v[52:53]
	;; [unrolled: 1-line block ×8, first 2 shown]
	v_lshl_add_u32 v22, v168, 7, v142
	ds_write2_b64 v22, v[4:5], v[24:25] offset1:1
	ds_write2_b64 v22, v[30:31], v[16:17] offset0:2 offset1:3
	ds_write2_b64 v22, v[28:29], v[32:33] offset0:4 offset1:5
	;; [unrolled: 1-line block ×7, first 2 shown]
	ds_write_b64 v22, v[8:9] offset:128
.LBB0_15:
	s_or_b64 exec, exec, s[24:25]
	s_movk_i32 s0, 0xf1
	v_mul_lo_u16_sdwa v4, v168, s0 dst_sel:DWORD dst_unused:UNUSED_PAD src0_sel:BYTE_0 src1_sel:DWORD
	v_lshrrev_b16_e32 v149, 12, v4
	v_mul_lo_u16_e32 v4, 17, v149
	v_sub_u16_e32 v150, v168, v4
	v_mov_b32_e32 v4, 5
	v_add_u32_e32 v114, 0x66, v168
	v_lshlrev_b32_sdwa v5, v4, v150 dst_sel:DWORD dst_unused:UNUSED_PAD src0_sel:DWORD src1_sel:BYTE_0
	s_waitcnt lgkmcnt(0)
	s_barrier
	global_load_dwordx4 v[20:23], v5, s[8:9] offset:16
	global_load_dwordx4 v[28:31], v5, s[8:9]
	v_mul_lo_u16_sdwa v5, v114, s0 dst_sel:DWORD dst_unused:UNUSED_PAD src0_sel:BYTE_0 src1_sel:DWORD
	v_lshrrev_b16_e32 v151, 12, v5
	v_mul_lo_u16_e32 v5, 17, v151
	v_sub_u16_e32 v152, v114, v5
	v_add_u32_e32 v112, 0xcc, v168
	v_lshlrev_b32_sdwa v4, v4, v152 dst_sel:DWORD dst_unused:UNUSED_PAD src0_sel:DWORD src1_sel:BYTE_0
	s_mov_b32 s0, 0xf0f1
	global_load_dwordx4 v[32:35], v4, s[8:9] offset:16
	global_load_dwordx4 v[36:39], v4, s[8:9]
	v_mul_u32_u24_sdwa v4, v112, s0 dst_sel:DWORD dst_unused:UNUSED_PAD src0_sel:WORD_0 src1_sel:DWORD
	v_lshrrev_b32_e32 v153, 20, v4
	v_mul_lo_u16_e32 v4, 17, v153
	v_sub_u16_e32 v154, v112, v4
	v_add_u32_e32 v115, 0x132, v168
	v_lshlrev_b32_e32 v4, 5, v154
	global_load_dwordx4 v[40:43], v4, s[8:9] offset:16
	global_load_dwordx4 v[44:47], v4, s[8:9]
	v_mul_u32_u24_sdwa v4, v115, s0 dst_sel:DWORD dst_unused:UNUSED_PAD src0_sel:WORD_0 src1_sel:DWORD
	v_lshrrev_b32_e32 v155, 20, v4
	v_mul_lo_u16_e32 v4, 17, v155
	v_sub_u16_e32 v156, v115, v4
	v_add_u32_e32 v113, 0x198, v168
	v_lshlrev_b32_e32 v4, 5, v156
	global_load_dwordx4 v[48:51], v4, s[8:9] offset:16
	global_load_dwordx4 v[52:55], v4, s[8:9]
	v_mul_u32_u24_sdwa v4, v113, s0 dst_sel:DWORD dst_unused:UNUSED_PAD src0_sel:WORD_0 src1_sel:DWORD
	v_lshrrev_b32_e32 v157, 20, v4
	v_mul_lo_u16_e32 v4, 17, v157
	v_sub_u16_e32 v158, v113, v4
	v_lshlrev_b32_e32 v4, 5, v158
	global_load_dwordx4 v[116:119], v4, s[8:9]
	global_load_dwordx4 v[120:123], v4, s[8:9] offset:16
	ds_read2_b64 v[24:27], v142 offset1:102
	ds_read2_b64 v[10:13], v146 offset0:152 offset1:254
	ds_read2_b64 v[56:59], v143 offset0:124 offset1:226
	;; [unrolled: 1-line block ×6, first 2 shown]
	ds_read_b64 v[4:5], v142 offset:11424
	s_mov_b32 s2, 0xe8584caa
	s_mov_b32 s3, 0x3febb67a
	;; [unrolled: 1-line block ×4, first 2 shown]
	s_waitcnt vmcnt(0) lgkmcnt(0)
	s_barrier
	v_cmp_gt_u32_e64 s[0:1], 51, v168
	v_mul_f64 v[66:67], v[56:57], v[22:23]
	v_mul_f64 v[64:65], v[12:13], v[30:31]
	;; [unrolled: 1-line block ×8, first 2 shown]
	v_fma_f64 v[104:105], v[76:77], v[28:29], -v[64:65]
	v_fma_f64 v[108:109], v[98:99], v[20:21], -v[66:67]
	v_fma_f64 v[106:107], v[12:13], v[28:29], v[30:31]
	v_mul_f64 v[132:133], v[70:71], v[42:43]
	v_mul_f64 v[130:131], v[62:63], v[46:47]
	;; [unrolled: 1-line block ×4, first 2 shown]
	v_fma_f64 v[98:99], v[94:95], v[36:37], -v[68:69]
	v_fma_f64 v[100:101], v[100:101], v[32:33], -v[128:129]
	v_fma_f64 v[64:65], v[56:57], v[20:21], v[22:23]
	v_mul_f64 v[136:137], v[72:73], v[50:51]
	v_mul_f64 v[134:135], v[124:125], v[54:55]
	;; [unrolled: 1-line block ×4, first 2 shown]
	v_fma_f64 v[110:111], v[60:61], v[36:37], v[38:39]
	v_fma_f64 v[94:95], v[58:59], v[32:33], v[34:35]
	v_mul_f64 v[138:139], v[126:127], v[118:119]
	v_mul_f64 v[140:141], v[4:5], v[122:123]
	;; [unrolled: 1-line block ×3, first 2 shown]
	v_fma_f64 v[56:57], v[96:97], v[44:45], -v[130:131]
	v_fma_f64 v[60:61], v[90:91], v[40:41], -v[132:133]
	v_fma_f64 v[12:13], v[70:71], v[40:41], v[42:43]
	v_fma_f64 v[58:59], v[86:87], v[52:53], -v[134:135]
	v_fma_f64 v[70:71], v[124:125], v[52:53], v[54:55]
	v_fma_f64 v[68:69], v[92:93], v[48:49], -v[136:137]
	v_mul_f64 v[118:119], v[88:89], v[118:119]
	v_fma_f64 v[54:55], v[4:5], v[120:121], v[122:123]
	v_add_f64 v[4:5], v[104:105], v[108:109]
	v_fma_f64 v[66:67], v[62:63], v[44:45], v[46:47]
	v_fma_f64 v[52:53], v[72:73], v[48:49], v[50:51]
	v_fma_f64 v[62:63], v[88:89], v[116:117], -v[138:139]
	v_fma_f64 v[72:73], v[2:3], v[120:121], -v[140:141]
	v_add_f64 v[28:29], v[98:99], v[100:101]
	v_add_f64 v[20:21], v[106:107], -v[64:65]
	v_add_f64 v[22:23], v[80:81], v[98:99]
	v_add_f64 v[34:35], v[56:57], v[60:61]
	;; [unrolled: 1-line block ×3, first 2 shown]
	v_fma_f64 v[4:5], v[4:5], -0.5, v[78:79]
	v_fma_f64 v[76:77], v[126:127], v[116:117], v[118:119]
	v_add_f64 v[30:31], v[110:111], -v[94:95]
	v_fma_f64 v[28:29], v[28:29], -0.5, v[80:81]
	v_add_f64 v[42:43], v[62:63], v[72:73]
	v_add_f64 v[2:3], v[78:79], v[104:105]
	;; [unrolled: 1-line block ×3, first 2 shown]
	v_add_f64 v[36:37], v[66:67], -v[12:13]
	v_add_f64 v[40:41], v[84:85], v[58:59]
	v_add_f64 v[44:45], v[22:23], v[100:101]
	v_fma_f64 v[22:23], v[34:35], -0.5, v[82:83]
	v_fma_f64 v[34:35], v[38:39], -0.5, v[84:85]
	v_fma_f64 v[38:39], v[20:21], s[2:3], v[4:5]
	v_fma_f64 v[46:47], v[20:21], s[4:5], v[4:5]
	v_add_f64 v[4:5], v[70:71], -v[52:53]
	v_fma_f64 v[48:49], v[30:31], s[2:3], v[28:29]
	v_fma_f64 v[28:29], v[30:31], s[4:5], v[28:29]
	v_add_f64 v[20:21], v[74:75], v[62:63]
	v_fma_f64 v[30:31], v[42:43], -0.5, v[74:75]
	v_add_f64 v[42:43], v[76:77], -v[54:55]
	v_add_f64 v[2:3], v[2:3], v[108:109]
	v_add_f64 v[32:33], v[32:33], v[60:61]
	v_fma_f64 v[50:51], v[36:37], s[2:3], v[22:23]
	v_add_f64 v[40:41], v[40:41], v[68:69]
	v_fma_f64 v[80:81], v[4:5], s[2:3], v[34:35]
	v_fma_f64 v[36:37], v[36:37], s[4:5], v[22:23]
	;; [unrolled: 1-line block ×3, first 2 shown]
	v_add_f64 v[20:21], v[20:21], v[72:73]
	v_fma_f64 v[22:23], v[42:43], s[2:3], v[30:31]
	v_fma_f64 v[4:5], v[42:43], s[4:5], v[30:31]
	v_mov_b32_e32 v31, 3
	v_mul_u32_u24_e32 v30, 0x198, v149
	v_lshlrev_b32_sdwa v42, v31, v150 dst_sel:DWORD dst_unused:UNUSED_PAD src0_sel:DWORD src1_sel:BYTE_0
	v_add3_u32 v74, 0, v30, v42
	ds_write2_b64 v74, v[2:3], v[38:39] offset1:17
	ds_write_b64 v74, v[46:47] offset:272
	v_mul_u32_u24_e32 v2, 0x198, v151
	v_lshlrev_b32_sdwa v3, v31, v152 dst_sel:DWORD dst_unused:UNUSED_PAD src0_sel:DWORD src1_sel:BYTE_0
	v_add3_u32 v75, 0, v2, v3
	v_mul_u32_u24_e32 v2, 0x198, v153
	v_lshlrev_b32_e32 v3, 3, v154
	v_add3_u32 v78, 0, v2, v3
	v_mul_u32_u24_e32 v2, 0x198, v155
	v_lshlrev_b32_e32 v3, 3, v156
	;; [unrolled: 3-line block ×3, first 2 shown]
	ds_write2_b64 v75, v[44:45], v[48:49] offset1:17
	ds_write_b64 v75, v[28:29] offset:272
	ds_write2_b64 v78, v[32:33], v[50:51] offset1:17
	ds_write_b64 v78, v[36:37] offset:272
	ds_write2_b64 v79, v[40:41], v[80:81] offset1:17
	ds_write_b64 v79, v[34:35] offset:272
	v_add3_u32 v80, 0, v2, v3
	v_add_u32_e32 v81, 0xc00, v142
	v_add_u32_e32 v82, 0x1400, v142
	ds_write2_b64 v80, v[20:21], v[22:23] offset1:17
	ds_write_b64 v80, v[4:5] offset:272
	s_waitcnt lgkmcnt(0)
	s_barrier
	ds_read2_b64 v[28:31], v142 offset1:102
	ds_read2_b64 v[40:43], v145 offset0:127 offset1:229
	ds_read2_b64 v[44:47], v81 offset0:126 offset1:228
	;; [unrolled: 1-line block ×5, first 2 shown]
	s_and_saveexec_b64 s[6:7], s[0:1]
	s_cbranch_execz .LBB0_17
; %bb.16:
	v_add_u32_e32 v0, 0x660, v142
	ds_read2_b64 v[20:23], v0 offset1:255
	v_add_u32_e32 v0, 0x1650, v142
	ds_read2_b64 v[4:7], v0 offset1:255
	;; [unrolled: 2-line block ×3, first 2 shown]
.LBB0_17:
	s_or_b64 exec, exec, s[6:7]
	v_add_f64 v[85:86], v[110:111], v[94:95]
	v_add_f64 v[83:84], v[106:107], v[64:65]
	;; [unrolled: 1-line block ×5, first 2 shown]
	v_add_f64 v[89:90], v[104:105], -v[108:109]
	v_add_f64 v[56:57], v[56:57], -v[60:61]
	v_add_f64 v[60:61], v[18:19], v[70:71]
	v_fma_f64 v[26:27], v[85:86], -0.5, v[26:27]
	v_add_f64 v[85:86], v[66:67], v[12:13]
	v_fma_f64 v[24:25], v[83:84], -0.5, v[24:25]
	v_add_f64 v[83:84], v[98:99], -v[100:101]
	v_add_f64 v[98:99], v[76:77], v[54:55]
	v_add_f64 v[66:67], v[16:17], v[66:67]
	v_fma_f64 v[18:19], v[96:97], -0.5, v[18:19]
	v_add_f64 v[58:59], v[58:59], -v[68:69]
	v_add_f64 v[68:69], v[10:11], v[76:77]
	v_fma_f64 v[16:17], v[85:86], -0.5, v[16:17]
	v_add_f64 v[62:63], v[62:63], -v[72:73]
	v_add_f64 v[64:65], v[87:88], v[64:65]
	v_fma_f64 v[10:11], v[98:99], -0.5, v[10:11]
	v_add_f64 v[87:88], v[91:92], v[94:95]
	v_fma_f64 v[91:92], v[89:90], s[4:5], v[24:25]
	v_fma_f64 v[24:25], v[89:90], s[2:3], v[24:25]
	v_fma_f64 v[89:90], v[83:84], s[4:5], v[26:27]
	v_fma_f64 v[26:27], v[83:84], s[2:3], v[26:27]
	v_add_f64 v[66:67], v[66:67], v[12:13]
	v_fma_f64 v[70:71], v[56:57], s[4:5], v[16:17]
	v_fma_f64 v[56:57], v[56:57], s[2:3], v[16:17]
	v_add_f64 v[52:53], v[60:61], v[52:53]
	v_fma_f64 v[60:61], v[58:59], s[4:5], v[18:19]
	v_fma_f64 v[58:59], v[58:59], s[2:3], v[18:19]
	;; [unrolled: 3-line block ×3, first 2 shown]
	v_add_u32_e32 v10, 0x400, v142
	s_waitcnt lgkmcnt(0)
	s_barrier
	ds_write2_b64 v74, v[64:65], v[91:92] offset1:17
	ds_write_b64 v74, v[24:25] offset:272
	ds_write2_b64 v75, v[87:88], v[89:90] offset1:17
	ds_write_b64 v75, v[26:27] offset:272
	;; [unrolled: 2-line block ×5, first 2 shown]
	s_waitcnt lgkmcnt(0)
	s_barrier
	ds_read2_b64 v[24:27], v142 offset1:102
	ds_read2_b64 v[68:71], v10 offset0:127 offset1:229
	ds_read2_b64 v[64:67], v81 offset0:126 offset1:228
	;; [unrolled: 1-line block ×3, first 2 shown]
	v_add_u32_e32 v10, 0x1c00, v142
	ds_read2_b64 v[56:59], v10 offset0:124 offset1:226
	v_add_u32_e32 v10, 0x2400, v142
	ds_read2_b64 v[60:63], v10 offset0:123 offset1:225
	s_and_saveexec_b64 s[2:3], s[0:1]
	s_cbranch_execz .LBB0_19
; %bb.18:
	v_add_u32_e32 v8, 0x660, v142
	ds_read2_b64 v[16:19], v8 offset1:255
	v_add_u32_e32 v8, 0x1650, v142
	ds_read2_b64 v[12:15], v8 offset1:255
	;; [unrolled: 2-line block ×3, first 2 shown]
.LBB0_19:
	s_or_b64 exec, exec, s[2:3]
	v_subrev_u32_e32 v72, 51, v168
	v_cndmask_b32_e64 v167, v72, v168, s[0:1]
	v_mul_i32_i24_e32 v72, 5, v167
	v_mov_b32_e32 v73, 0
	v_lshlrev_b64 v[72:73], 4, v[72:73]
	v_mov_b32_e32 v74, s9
	v_add_co_u32_e64 v72, s[2:3], s8, v72
	v_addc_co_u32_e64 v73, s[2:3], v74, v73, s[2:3]
	s_movk_i32 s2, 0xa1
	global_load_dwordx4 v[80:83], v[72:73], off offset:592
	global_load_dwordx4 v[74:77], v[72:73], off offset:576
	;; [unrolled: 1-line block ×5, first 2 shown]
	v_mul_lo_u16_sdwa v72, v114, s2 dst_sel:DWORD dst_unused:UNUSED_PAD src0_sel:BYTE_0 src1_sel:DWORD
	v_lshrrev_b16_e32 v173, 13, v72
	v_mul_lo_u16_e32 v72, 51, v173
	v_sub_u16_e32 v174, v114, v72
	v_mov_b32_e32 v72, 5
	v_mul_u32_u24_sdwa v72, v174, v72 dst_sel:DWORD dst_unused:UNUSED_PAD src0_sel:BYTE_0 src1_sel:DWORD
	v_lshlrev_b32_e32 v72, 4, v72
	s_mov_b32 s2, 0xa0a1
	global_load_dwordx4 v[96:99], v72, s[8:9] offset:576
	global_load_dwordx4 v[104:107], v72, s[8:9] offset:560
	;; [unrolled: 1-line block ×5, first 2 shown]
	v_mul_u32_u24_sdwa v72, v112, s2 dst_sel:DWORD dst_unused:UNUSED_PAD src0_sel:WORD_0 src1_sel:DWORD
	v_lshrrev_b32_e32 v72, 21, v72
	v_mul_lo_u16_e32 v72, 51, v72
	v_sub_u16_e32 v175, v112, v72
	v_mul_u32_u24_e32 v72, 5, v175
	v_lshlrev_b32_e32 v72, 4, v72
	global_load_dwordx4 v[124:127], v72, s[8:9] offset:544
	global_load_dwordx4 v[128:131], v72, s[8:9] offset:560
	;; [unrolled: 1-line block ×5, first 2 shown]
	s_mov_b32 s4, 0xe8584caa
	s_mov_b32 s5, 0x3febb67a
	s_mov_b32 s7, 0xbfebb67a
	s_mov_b32 s6, s4
	v_cmp_lt_u32_e64 s[2:3], 50, v168
	s_waitcnt vmcnt(0) lgkmcnt(0)
	s_barrier
	v_mul_f64 v[140:141], v[56:57], v[82:83]
	v_mul_f64 v[100:101], v[52:53], v[76:77]
	;; [unrolled: 1-line block ×11, first 2 shown]
	v_fma_f64 v[171:172], v[40:41], v[88:89], -v[72:73]
	v_mul_f64 v[155:156], v[58:59], v[118:119]
	v_mul_f64 v[118:119], v[38:39], v[118:119]
	;; [unrolled: 1-line block ×3, first 2 shown]
	v_fma_f64 v[68:69], v[68:69], v[88:89], v[78:79]
	v_fma_f64 v[72:73], v[44:45], v[84:85], -v[90:91]
	v_mul_f64 v[161:162], v[12:13], v[130:131]
	v_mul_f64 v[163:164], v[14:15], v[134:135]
	;; [unrolled: 1-line block ×3, first 2 shown]
	v_fma_f64 v[78:79], v[64:65], v[84:85], v[86:87]
	v_fma_f64 v[84:85], v[48:49], v[74:75], -v[100:101]
	v_fma_f64 v[74:75], v[52:53], v[74:75], v[76:77]
	v_fma_f64 v[76:77], v[36:37], v[80:81], -v[140:141]
	;; [unrolled: 2-line block ×3, first 2 shown]
	v_fma_f64 v[64:65], v[60:61], v[92:93], v[94:95]
	v_mul_f64 v[149:150], v[70:71], v[110:111]
	v_mul_f64 v[110:111], v[42:43], v[110:111]
	v_mul_f64 v[153:154], v[54:55], v[98:99]
	v_mul_f64 v[98:99], v[50:51], v[98:99]
	v_mul_f64 v[122:123], v[34:35], v[122:123]
	v_mul_f64 v[130:131], v[4:5], v[130:131]
	v_mul_f64 v[165:166], v[8:9], v[138:139]
	v_mul_f64 v[138:139], v[0:1], v[138:139]
	v_mul_f64 v[169:170], v[10:11], v[145:146]
	v_mul_f64 v[145:146], v[2:3], v[145:146]
	v_fma_f64 v[48:49], v[58:59], v[116:117], v[118:119]
	v_fma_f64 v[58:59], v[34:35], v[120:121], -v[157:158]
	v_fma_f64 v[40:41], v[4:5], v[128:129], -v[161:162]
	v_fma_f64 v[34:35], v[14:15], v[132:133], v[134:135]
	v_add_f64 v[4:5], v[74:75], v[64:65]
	v_add_f64 v[14:15], v[84:85], v[80:81]
	v_mul_f64 v[106:107], v[46:47], v[106:107]
	v_mul_f64 v[159:160], v[18:19], v[126:127]
	;; [unrolled: 1-line block ×3, first 2 shown]
	v_fma_f64 v[52:53], v[70:71], v[108:109], v[110:111]
	v_fma_f64 v[60:61], v[46:47], v[104:105], -v[151:152]
	v_fma_f64 v[70:71], v[50:51], v[96:97], -v[153:154]
	v_fma_f64 v[50:51], v[54:55], v[96:97], v[98:99]
	v_fma_f64 v[54:55], v[38:39], v[116:117], -v[155:156]
	v_fma_f64 v[46:47], v[62:63], v[120:121], v[122:123]
	v_fma_f64 v[36:37], v[8:9], v[136:137], v[138:139]
	;; [unrolled: 1-line block ×3, first 2 shown]
	v_add_f64 v[8:9], v[74:75], -v[64:65]
	v_add_f64 v[10:11], v[84:85], -v[80:81]
	v_fma_f64 v[4:5], v[4:5], -0.5, v[68:69]
	v_fma_f64 v[14:15], v[14:15], -0.5, v[171:172]
	v_fma_f64 v[82:83], v[42:43], v[108:109], -v[149:150]
	v_fma_f64 v[32:33], v[18:19], v[124:125], v[126:127]
	v_fma_f64 v[42:43], v[12:13], v[128:129], v[130:131]
	v_fma_f64 v[44:45], v[0:1], v[136:137], -v[165:166]
	v_fma_f64 v[12:13], v[2:3], v[143:144], -v[169:170]
	v_add_f64 v[18:19], v[28:29], v[72:73]
	v_add_f64 v[62:63], v[72:73], v[76:77]
	;; [unrolled: 1-line block ×4, first 2 shown]
	v_fma_f64 v[2:3], v[10:11], s[6:7], v[4:5]
	v_fma_f64 v[0:1], v[8:9], s[6:7], v[14:15]
	v_add_f64 v[94:95], v[50:51], v[46:47]
	v_add_f64 v[86:87], v[78:79], -v[56:57]
	v_add_f64 v[92:93], v[50:51], -v[46:47]
	;; [unrolled: 1-line block ×3, first 2 shown]
	v_fma_f64 v[62:63], v[62:63], -0.5, v[28:29]
	v_fma_f64 v[28:29], v[8:9], s[4:5], v[14:15]
	v_fma_f64 v[10:11], v[10:11], s[4:5], v[4:5]
	v_mul_f64 v[4:5], v[2:3], s[4:5]
	v_mul_f64 v[8:9], v[0:1], -0.5
	v_add_f64 v[14:15], v[18:19], v[76:77]
	v_add_f64 v[18:19], v[84:85], v[80:81]
	v_fma_f64 v[80:81], v[90:91], -0.5, v[82:83]
	v_fma_f64 v[84:85], v[94:95], -0.5, v[52:53]
	v_fma_f64 v[66:67], v[66:67], v[104:105], v[106:107]
	v_fma_f64 v[6:7], v[6:7], v[132:133], -v[163:164]
	v_fma_f64 v[90:91], v[86:87], s[4:5], v[62:63]
	v_fma_f64 v[62:63], v[86:87], s[6:7], v[62:63]
	v_fma_f64 v[86:87], v[28:29], 0.5, v[4:5]
	v_fma_f64 v[94:95], v[10:11], s[4:5], v[8:9]
	v_add_f64 v[98:99], v[60:61], v[54:55]
	v_add_f64 v[70:71], v[82:83], v[70:71]
	v_fma_f64 v[4:5], v[92:93], s[6:7], v[80:81]
	v_fma_f64 v[8:9], v[96:97], s[6:7], v[84:85]
	v_fma_f64 v[22:23], v[22:23], v[124:125], -v[159:160]
	v_add_f64 v[88:89], v[30:31], v[60:61]
	v_add_f64 v[100:101], v[14:15], v[18:19]
	v_add_f64 v[104:105], v[14:15], -v[18:19]
	v_fma_f64 v[30:31], v[98:99], -0.5, v[30:31]
	v_add_f64 v[82:83], v[66:67], -v[48:49]
	v_fma_f64 v[18:19], v[92:93], s[4:5], v[80:81]
	v_fma_f64 v[14:15], v[96:97], s[4:5], v[84:85]
	v_mul_f64 v[80:81], v[8:9], s[4:5]
	v_mul_f64 v[84:85], v[4:5], -0.5
	v_add_f64 v[58:59], v[70:71], v[58:59]
	v_add_f64 v[70:71], v[6:7], v[12:13]
	;; [unrolled: 1-line block ×5, first 2 shown]
	v_add_f64 v[86:87], v[90:91], -v[86:87]
	v_add_f64 v[88:89], v[88:89], v[54:55]
	v_fma_f64 v[90:91], v[82:83], s[4:5], v[30:31]
	v_fma_f64 v[30:31], v[82:83], s[6:7], v[30:31]
	v_fma_f64 v[80:81], v[18:19], 0.5, v[80:81]
	v_fma_f64 v[82:83], v[14:15], s[4:5], v[84:85]
	v_add_f64 v[84:85], v[62:63], -v[94:95]
	v_fma_f64 v[62:63], v[70:71], -0.5, v[22:23]
	v_add_f64 v[96:97], v[34:35], -v[38:39]
	v_fma_f64 v[92:93], v[92:93], -0.5, v[32:33]
	v_add_f64 v[98:99], v[6:7], -v[12:13]
	v_add_f64 v[94:95], v[88:89], v[58:59]
	v_add_f64 v[110:111], v[90:91], v[80:81]
	v_add_f64 v[88:89], v[88:89], -v[58:59]
	v_add_f64 v[90:91], v[90:91], -v[80:81]
	v_add_f64 v[116:117], v[30:31], v[82:83]
	v_fma_f64 v[70:71], v[96:97], s[4:5], v[62:63]
	v_fma_f64 v[58:59], v[96:97], s[6:7], v[62:63]
	v_fma_f64 v[62:63], v[98:99], s[6:7], v[92:93]
	v_fma_f64 v[80:81], v[98:99], s[4:5], v[92:93]
	v_add_f64 v[30:31], v[30:31], -v[82:83]
	v_mov_b32_e32 v82, 0x990
	v_cndmask_b32_e64 v82, 0, v82, s[2:3]
	v_lshlrev_b32_e32 v83, 3, v167
	v_add3_u32 v83, 0, v82, v83
	ds_write2_b64 v83, v[100:101], v[106:107] offset1:51
	ds_write2_b64 v83, v[108:109], v[104:105] offset0:102 offset1:153
	ds_write2_b64 v83, v[86:87], v[84:85] offset0:204 offset1:255
	v_mov_b32_e32 v84, 3
	v_mul_u32_u24_e32 v82, 0x990, v173
	v_lshlrev_b32_sdwa v84, v84, v174 dst_sel:DWORD dst_unused:UNUSED_PAD src0_sel:DWORD src1_sel:BYTE_0
	v_add3_u32 v84, 0, v82, v84
	v_lshl_add_u32 v82, v175, 3, 0
	ds_write2_b64 v84, v[94:95], v[110:111] offset1:51
	ds_write2_b64 v84, v[116:117], v[88:89] offset0:102 offset1:153
	ds_write2_b64 v84, v[90:91], v[30:31] offset0:204 offset1:255
	s_and_saveexec_b64 s[2:3], s[0:1]
	s_cbranch_execz .LBB0_21
; %bb.20:
	v_add_f64 v[30:31], v[40:41], v[44:45]
	v_add_f64 v[85:86], v[42:43], -v[36:37]
	v_mul_f64 v[87:88], v[58:59], -0.5
	v_add_f64 v[89:90], v[20:21], v[40:41]
	v_add_f64 v[6:7], v[22:23], v[6:7]
	v_mul_f64 v[22:23], v[62:63], s[4:5]
	v_fma_f64 v[20:21], v[30:31], -0.5, v[20:21]
	v_fma_f64 v[30:31], v[80:81], s[4:5], v[87:88]
	v_add_f64 v[87:88], v[89:90], v[44:45]
	v_add_f64 v[6:7], v[6:7], v[12:13]
	v_fma_f64 v[12:13], v[70:71], 0.5, v[22:23]
	v_fma_f64 v[22:23], v[85:86], s[6:7], v[20:21]
	v_fma_f64 v[20:21], v[85:86], s[4:5], v[20:21]
	v_add_f64 v[85:86], v[87:88], -v[6:7]
	v_add_f64 v[6:7], v[87:88], v[6:7]
	v_add_f64 v[87:88], v[22:23], -v[30:31]
	v_add_f64 v[89:90], v[20:21], v[12:13]
	v_add_f64 v[22:23], v[22:23], v[30:31]
	v_add_f64 v[12:13], v[20:21], -v[12:13]
	v_add_u32_e32 v20, 0x2000, v82
	v_add_u32_e32 v21, 0x2800, v82
	ds_write2_b64 v20, v[6:7], v[89:90] offset0:200 offset1:251
	ds_write2_b64 v21, v[22:23], v[85:86] offset0:46 offset1:97
	ds_write2_b64 v21, v[12:13], v[87:88] offset0:148 offset1:199
.LBB0_21:
	s_or_b64 exec, exec, s[2:3]
	v_add_f64 v[6:7], v[78:79], v[56:57]
	v_add_f64 v[30:31], v[66:67], v[48:49]
	v_add_f64 v[12:13], v[24:25], v[78:79]
	v_add_f64 v[20:21], v[68:69], v[74:75]
	v_add_f64 v[22:23], v[72:73], -v[76:77]
	v_mul_f64 v[28:29], v[28:29], s[6:7]
	v_add_f64 v[54:55], v[60:61], -v[54:55]
	v_mul_f64 v[18:19], v[18:19], s[6:7]
	v_fma_f64 v[6:7], v[6:7], -0.5, v[24:25]
	v_add_f64 v[24:25], v[26:27], v[66:67]
	v_fma_f64 v[26:27], v[30:31], -0.5, v[26:27]
	v_mul_f64 v[10:11], v[10:11], -0.5
	v_add_f64 v[50:51], v[52:53], v[50:51]
	v_mul_f64 v[14:15], v[14:15], -0.5
	v_add_f64 v[12:13], v[12:13], v[56:57]
	v_add_f64 v[20:21], v[20:21], v[64:65]
	v_fma_f64 v[30:31], v[22:23], s[6:7], v[6:7]
	v_fma_f64 v[6:7], v[22:23], s[4:5], v[6:7]
	v_fma_f64 v[2:3], v[2:3], 0.5, v[28:29]
	v_fma_f64 v[22:23], v[54:55], s[6:7], v[26:27]
	v_fma_f64 v[8:9], v[8:9], 0.5, v[18:19]
	v_fma_f64 v[0:1], v[0:1], s[6:7], v[10:11]
	v_add_f64 v[10:11], v[24:25], v[48:49]
	v_fma_f64 v[24:25], v[54:55], s[4:5], v[26:27]
	v_add_f64 v[26:27], v[50:51], v[46:47]
	;; [unrolled: 2-line block ×3, first 2 shown]
	v_add_f64 v[46:47], v[30:31], v[2:3]
	v_add_f64 v[64:65], v[22:23], v[8:9]
	v_add_f64 v[72:73], v[22:23], -v[8:9]
	v_add_u32_e32 v8, 0x1000, v142
	v_add_f64 v[48:49], v[6:7], v[0:1]
	v_add_f64 v[50:51], v[12:13], -v[20:21]
	s_waitcnt lgkmcnt(0)
	s_barrier
	ds_read2_b64 v[12:15], v8 offset0:100 offset1:202
	v_add_u32_e32 v8, 0x1800, v142
	v_add_f64 v[54:55], v[30:31], -v[2:3]
	v_add_f64 v[56:57], v[6:7], -v[0:1]
	v_add_f64 v[60:61], v[10:11], v[26:27]
	v_add_f64 v[66:67], v[24:25], v[4:5]
	v_add_f64 v[68:69], v[10:11], -v[26:27]
	v_add_f64 v[74:75], v[24:25], -v[4:5]
	v_add_u32_e32 v4, 0x400, v142
	ds_read2_b64 v[18:21], v8 offset0:48 offset1:150
	v_add_u32_e32 v8, 0x2400, v142
	v_add_u32_e32 v22, 0x800, v142
	;; [unrolled: 1-line block ×3, first 2 shown]
	ds_read2_b64 v[0:3], v142 offset1:102
	ds_read2_b64 v[4:7], v4 offset0:76 offset1:178
	ds_read2_b64 v[8:11], v8 offset0:72 offset1:174
	;; [unrolled: 1-line block ×4, first 2 shown]
	ds_read_b64 v[30:31], v142 offset:11424
	s_waitcnt lgkmcnt(0)
	s_barrier
	ds_write2_b64 v83, v[52:53], v[46:47] offset1:51
	ds_write2_b64 v83, v[48:49], v[50:51] offset0:102 offset1:153
	ds_write2_b64 v83, v[54:55], v[56:57] offset0:204 offset1:255
	ds_write2_b64 v84, v[60:61], v[64:65] offset1:51
	ds_write2_b64 v84, v[66:67], v[68:69] offset0:102 offset1:153
	ds_write2_b64 v84, v[72:73], v[74:75] offset0:204 offset1:255
	s_and_saveexec_b64 s[2:3], s[0:1]
	s_cbranch_execz .LBB0_23
; %bb.22:
	v_add_f64 v[46:47], v[42:43], v[36:37]
	s_mov_b32 s0, 0xe8584caa
	s_mov_b32 s1, 0xbfebb67a
	v_add_f64 v[42:43], v[16:17], v[42:43]
	v_add_f64 v[40:41], v[40:41], -v[44:45]
	v_add_f64 v[32:33], v[32:33], v[34:35]
	v_mul_f64 v[44:45], v[70:71], s[0:1]
	v_mul_f64 v[34:35], v[80:81], -0.5
	v_fma_f64 v[16:17], v[46:47], -0.5, v[16:17]
	s_mov_b32 s5, 0x3febb67a
	s_mov_b32 s4, s0
	v_add_f64 v[36:37], v[42:43], v[36:37]
	v_add_f64 v[32:33], v[32:33], v[38:39]
	v_fma_f64 v[38:39], v[62:63], 0.5, v[44:45]
	v_fma_f64 v[34:35], v[58:59], s[0:1], v[34:35]
	v_fma_f64 v[42:43], v[40:41], s[0:1], v[16:17]
	;; [unrolled: 1-line block ×3, first 2 shown]
	v_add_f64 v[40:41], v[36:37], v[32:33]
	v_add_f64 v[32:33], v[36:37], -v[32:33]
	v_add_f64 v[36:37], v[42:43], v[38:39]
	v_add_f64 v[44:45], v[16:17], v[34:35]
	v_add_f64 v[38:39], v[42:43], -v[38:39]
	v_add_f64 v[16:17], v[16:17], -v[34:35]
	v_add_u32_e32 v34, 0x2000, v82
	v_add_u32_e32 v35, 0x2800, v82
	ds_write2_b64 v34, v[40:41], v[36:37] offset0:200 offset1:251
	ds_write2_b64 v35, v[44:45], v[32:33] offset0:46 offset1:97
	;; [unrolled: 1-line block ×3, first 2 shown]
.LBB0_23:
	s_or_b64 exec, exec, s[2:3]
	s_waitcnt lgkmcnt(0)
	s_barrier
	s_and_saveexec_b64 s[0:1], vcc
	s_cbranch_execz .LBB0_25
; %bb.24:
	v_lshlrev_b32_e32 v16, 2, v112
	v_mov_b32_e32 v17, 0
	v_lshlrev_b64 v[32:33], 4, v[16:17]
	v_mov_b32_e32 v72, s9
	v_add_co_u32_e32 v16, vcc, s8, v32
	v_addc_co_u32_e32 v40, vcc, v72, v33, vcc
	v_add_co_u32_e32 v48, vcc, 0x1210, v16
	v_addc_co_u32_e32 v49, vcc, 0, v40, vcc
	;; [unrolled: 2-line block ×3, first 2 shown]
	global_load_dwordx4 v[32:35], v[48:49], off offset:32
	global_load_dwordx4 v[36:39], v[48:49], off offset:16
	global_load_dwordx4 v[40:43], v[50:51], off offset:528
	global_load_dwordx4 v[44:47], v[48:49], off offset:48
	v_lshlrev_b32_e32 v16, 2, v114
	v_lshlrev_b64 v[48:49], 4, v[16:17]
	s_movk_i32 s9, 0x1000
	v_add_co_u32_e32 v16, vcc, s8, v48
	v_addc_co_u32_e32 v68, vcc, v72, v49, vcc
	v_add_co_u32_e32 v48, vcc, s9, v16
	v_addc_co_u32_e32 v49, vcc, 0, v68, vcc
	s_movk_i32 s16, 0x1210
	v_add_co_u32_e32 v80, vcc, s16, v16
	v_add_u32_e32 v52, 0x1800, v142
	v_add_u32_e32 v56, 0x800, v142
	;; [unrolled: 1-line block ×4, first 2 shown]
	v_addc_co_u32_e32 v81, vcc, 0, v68, vcc
	global_load_dwordx4 v[48:51], v[48:49], off offset:528
	ds_read_b64 v[84:85], v142 offset:11424
	ds_read2_b64 v[52:55], v52 offset0:48 offset1:150
	ds_read2_b64 v[56:59], v56 offset0:152 offset1:254
	;; [unrolled: 1-line block ×4, first 2 shown]
	global_load_dwordx4 v[68:71], v[80:81], off offset:48
	v_lshlrev_b32_e32 v16, 2, v168
	v_lshlrev_b64 v[16:17], 4, v[16:17]
	s_mov_b32 s6, 0x134454ff
	v_add_co_u32_e32 v110, vcc, s8, v16
	v_addc_co_u32_e32 v111, vcc, v72, v17, vcc
	global_load_dwordx4 v[72:75], v[80:81], off offset:32
	global_load_dwordx4 v[76:79], v[80:81], off offset:16
	v_add_co_u32_e32 v16, vcc, s9, v110
	v_addc_co_u32_e32 v17, vcc, 0, v111, vcc
	s_mov_b32 s7, 0xbfee6f0e
	s_mov_b32 s11, 0x3fee6f0e
	;; [unrolled: 1-line block ×9, first 2 shown]
	v_add_u32_e32 v116, 0x1000, v142
	s_waitcnt vmcnt(7) lgkmcnt(1)
	v_mul_f64 v[82:83], v[62:63], v[34:35]
	s_waitcnt vmcnt(6)
	v_mul_f64 v[80:81], v[18:19], v[38:39]
	v_mul_f64 v[34:35], v[28:29], v[34:35]
	s_waitcnt vmcnt(5)
	v_mul_f64 v[86:87], v[24:25], v[42:43]
	s_waitcnt vmcnt(4)
	v_mul_f64 v[88:89], v[30:31], v[46:47]
	v_mul_f64 v[38:39], v[52:53], v[38:39]
	;; [unrolled: 1-line block ×4, first 2 shown]
	v_fma_f64 v[92:93], v[28:29], v[32:33], -v[82:83]
	v_fma_f64 v[52:53], v[52:53], v[36:37], v[80:81]
	v_fma_f64 v[28:29], v[62:63], v[32:33], v[34:35]
	global_load_dwordx4 v[80:83], v[16:17], off offset:528
	v_fma_f64 v[16:17], v[58:59], v[40:41], v[86:87]
	v_fma_f64 v[32:33], v[84:85], v[44:45], v[88:89]
	v_fma_f64 v[18:19], v[18:19], v[36:37], -v[38:39]
	v_fma_f64 v[34:35], v[24:25], v[40:41], -v[42:43]
	;; [unrolled: 1-line block ×3, first 2 shown]
	v_add_f64 v[36:37], v[52:53], v[28:29]
	v_add_f64 v[58:59], v[52:53], -v[28:29]
	s_waitcnt lgkmcnt(0)
	v_add_f64 v[88:89], v[16:17], v[64:65]
	v_add_f64 v[62:63], v[16:17], v[32:33]
	;; [unrolled: 1-line block ×3, first 2 shown]
	v_add_f64 v[24:25], v[18:19], -v[92:93]
	v_add_f64 v[96:97], v[34:35], v[46:47]
	v_add_f64 v[40:41], v[52:53], -v[16:17]
	v_add_f64 v[42:43], v[28:29], -v[32:33]
	;; [unrolled: 1-line block ×5, first 2 shown]
	v_fma_f64 v[16:17], v[36:37], -0.5, v[64:65]
	v_fma_f64 v[36:37], v[62:63], -0.5, v[64:65]
	;; [unrolled: 1-line block ×3, first 2 shown]
	v_add_f64 v[38:39], v[52:53], v[88:89]
	v_fma_f64 v[52:53], v[96:97], -0.5, v[4:5]
	v_add_f64 v[86:87], v[32:33], -v[28:29]
	v_add_f64 v[40:41], v[40:41], v[42:43]
	v_add_f64 v[90:91], v[18:19], -v[34:35]
	v_fma_f64 v[42:43], v[44:45], s[10:11], v[16:17]
	v_fma_f64 v[16:17], v[44:45], s[6:7], v[16:17]
	;; [unrolled: 1-line block ×4, first 2 shown]
	v_add_f64 v[28:29], v[28:29], v[38:39]
	v_fma_f64 v[38:39], v[58:59], s[10:11], v[52:53]
	v_fma_f64 v[52:53], v[58:59], s[6:7], v[52:53]
	v_add_f64 v[64:65], v[84:85], v[86:87]
	v_fma_f64 v[42:43], v[24:25], s[2:3], v[42:43]
	v_fma_f64 v[24:25], v[24:25], s[4:5], v[16:17]
	;; [unrolled: 1-line block ×4, first 2 shown]
	v_add_f64 v[36:37], v[32:33], v[28:29]
	v_fma_f64 v[96:97], v[98:99], s[4:5], v[38:39]
	v_fma_f64 v[108:109], v[98:99], s[2:3], v[52:53]
	v_add_co_u32_e32 v52, vcc, s16, v110
	v_addc_co_u32_e32 v53, vcc, 0, v111, vcc
	v_fma_f64 v[32:33], v[64:65], s[0:1], v[24:25]
	v_fma_f64 v[24:25], v[40:41], s[0:1], v[62:63]
	;; [unrolled: 1-line block ×3, first 2 shown]
	global_load_dwordx4 v[38:41], v[52:53], off offset:48
	v_fma_f64 v[16:17], v[64:65], s[0:1], v[42:43]
	global_load_dwordx4 v[42:45], v[52:53], off offset:32
	global_load_dwordx4 v[62:65], v[52:53], off offset:16
	v_add_f64 v[94:95], v[92:93], -v[46:47]
	s_waitcnt vmcnt(7)
	v_mul_f64 v[30:31], v[22:23], v[50:51]
	s_waitcnt vmcnt(6)
	v_mul_f64 v[110:111], v[10:11], v[70:71]
	v_add_u32_e32 v84, 0x2400, v142
	v_add_f64 v[100:101], v[34:35], -v[18:19]
	v_add_f64 v[104:105], v[46:47], -v[92:93]
	s_waitcnt vmcnt(5)
	v_mul_f64 v[52:53], v[60:61], v[74:75]
	v_mul_f64 v[74:75], v[26:27], v[74:75]
	v_add_f64 v[94:95], v[90:91], v[94:95]
	ds_read2_b64 v[84:87], v84 offset0:72 offset1:174
	ds_read2_b64 v[88:91], v116 offset0:100 offset1:202
	v_fma_f64 v[116:117], v[56:57], v[48:49], v[30:31]
	v_mul_f64 v[56:57], v[56:57], v[50:51]
	v_add_f64 v[4:5], v[4:5], v[34:35]
	s_waitcnt lgkmcnt(1)
	v_fma_f64 v[110:111], v[86:87], v[68:69], v[110:111]
	s_waitcnt vmcnt(4) lgkmcnt(0)
	v_mul_f64 v[30:31], v[90:91], v[78:79]
	v_add_f64 v[100:101], v[100:101], v[104:105]
	v_fma_f64 v[104:105], v[98:99], s[6:7], v[106:107]
	v_fma_f64 v[98:99], v[98:99], s[10:11], v[106:107]
	v_mul_f64 v[78:79], v[14:15], v[78:79]
	v_mul_f64 v[70:71], v[86:87], v[70:71]
	v_fma_f64 v[118:119], v[26:27], v[72:73], -v[52:53]
	v_add_f64 v[86:87], v[116:117], v[110:111]
	v_fma_f64 v[106:107], v[14:15], v[76:77], -v[30:31]
	ds_read2_b64 v[50:53], v142 offset1:102
	v_fma_f64 v[60:61], v[60:61], v[72:73], v[74:75]
	v_fma_f64 v[72:73], v[22:23], v[48:49], -v[56:57]
	v_fma_f64 v[76:77], v[90:91], v[76:77], v[78:79]
	v_fma_f64 v[68:69], v[10:11], v[68:69], -v[70:71]
	v_fma_f64 v[14:15], v[58:59], s[4:5], v[104:105]
	s_waitcnt lgkmcnt(0)
	v_fma_f64 v[10:11], v[86:87], -0.5, v[52:53]
	v_add_f64 v[56:57], v[106:107], -v[118:119]
	v_fma_f64 v[30:31], v[58:59], s[2:3], v[98:99]
	v_add_f64 v[4:5], v[18:19], v[4:5]
	v_add_f64 v[48:49], v[60:61], -v[110:111]
	v_add_f64 v[18:19], v[76:77], -v[116:117]
	v_add_f64 v[34:35], v[76:77], v[60:61]
	v_add_f64 v[58:59], v[72:73], -v[68:69]
	v_add_f64 v[78:79], v[116:117], -v[76:77]
	v_fma_f64 v[70:71], v[56:57], s[6:7], v[10:11]
	v_fma_f64 v[10:11], v[56:57], s[10:11], v[10:11]
	v_add_f64 v[4:5], v[4:5], v[92:93]
	v_add_f64 v[86:87], v[110:111], -v[60:61]
	v_add_f64 v[18:19], v[18:19], v[48:49]
	v_fma_f64 v[74:75], v[34:35], -0.5, v[52:53]
	v_add_f64 v[92:93], v[76:77], -v[60:61]
	v_fma_f64 v[22:23], v[94:95], s[0:1], v[96:97]
	v_fma_f64 v[48:49], v[58:59], s[2:3], v[70:71]
	v_add_f64 v[70:71], v[72:73], v[68:69]
	v_add_f64 v[34:35], v[4:5], v[46:47]
	;; [unrolled: 1-line block ×3, first 2 shown]
	v_fma_f64 v[10:11], v[58:59], s[4:5], v[10:11]
	v_fma_f64 v[90:91], v[58:59], s[10:11], v[74:75]
	v_fma_f64 v[26:27], v[94:95], s[0:1], v[108:109]
	v_add_f64 v[52:53], v[78:79], v[86:87]
	v_fma_f64 v[74:75], v[58:59], s[6:7], v[74:75]
	v_fma_f64 v[46:47], v[70:71], -0.5, v[2:3]
	v_add_f64 v[78:79], v[106:107], -v[72:73]
	v_add_f64 v[76:77], v[76:77], v[4:5]
	v_add_f64 v[86:87], v[118:119], -v[68:69]
	v_fma_f64 v[70:71], v[56:57], s[2:3], v[90:91]
	v_add_f64 v[94:95], v[116:117], -v[110:111]
	v_fma_f64 v[58:59], v[18:19], s[0:1], v[10:11]
	v_add_f64 v[10:11], v[106:107], v[118:119]
	v_fma_f64 v[90:91], v[92:93], s[10:11], v[46:47]
	v_fma_f64 v[46:47], v[92:93], s[6:7], v[46:47]
	;; [unrolled: 1-line block ×5, first 2 shown]
	v_add_f64 v[56:57], v[60:61], v[76:77]
	v_add_f64 v[60:61], v[78:79], v[86:87]
	v_add_f64 v[76:77], v[72:73], -v[106:107]
	v_fma_f64 v[70:71], v[94:95], s[4:5], v[90:91]
	v_fma_f64 v[74:75], v[94:95], s[2:3], v[46:47]
	v_add_f64 v[78:79], v[68:69], -v[118:119]
	v_fma_f64 v[86:87], v[10:11], -0.5, v[2:3]
	v_fma_f64 v[10:11], v[52:53], s[0:1], v[18:19]
	s_waitcnt vmcnt(3)
	v_mul_f64 v[18:19], v[6:7], v[82:83]
	v_add_f64 v[52:53], v[110:111], v[56:57]
	v_add_f64 v[2:3], v[2:3], v[72:73]
	v_fma_f64 v[46:47], v[60:61], s[0:1], v[70:71]
	s_waitcnt vmcnt(2)
	v_mul_f64 v[70:71], v[8:9], v[40:41]
	v_fma_f64 v[56:57], v[60:61], s[0:1], v[74:75]
	v_add_f64 v[60:61], v[76:77], v[78:79]
	v_fma_f64 v[74:75], v[94:95], s[6:7], v[86:87]
	s_waitcnt vmcnt(0)
	v_mul_f64 v[76:77], v[12:13], v[64:65]
	v_fma_f64 v[78:79], v[94:95], s[10:11], v[86:87]
	v_mul_f64 v[86:87], v[20:21], v[44:45]
	v_fma_f64 v[18:19], v[66:67], v[80:81], v[18:19]
	v_fma_f64 v[70:71], v[84:85], v[38:39], v[70:71]
	v_mul_f64 v[64:65], v[88:89], v[64:65]
	v_mul_f64 v[44:45], v[54:55], v[44:45]
	;; [unrolled: 1-line block ×3, first 2 shown]
	v_fma_f64 v[72:73], v[88:89], v[62:63], v[76:77]
	v_mul_f64 v[40:41], v[84:85], v[40:41]
	v_fma_f64 v[54:55], v[54:55], v[42:43], v[86:87]
	v_fma_f64 v[14:15], v[100:101], s[0:1], v[14:15]
	v_add_f64 v[76:77], v[18:19], v[70:71]
	v_fma_f64 v[12:13], v[12:13], v[62:63], -v[64:65]
	v_fma_f64 v[42:43], v[20:21], v[42:43], -v[44:45]
	v_fma_f64 v[20:21], v[92:93], s[4:5], v[74:75]
	v_fma_f64 v[6:7], v[6:7], v[80:81], -v[66:67]
	v_fma_f64 v[64:65], v[8:9], v[38:39], -v[40:41]
	v_add_f64 v[8:9], v[72:73], v[54:55]
	v_fma_f64 v[44:45], v[92:93], s[2:3], v[78:79]
	v_add_f64 v[38:39], v[106:107], v[2:3]
	v_fma_f64 v[40:41], v[76:77], -0.5, v[50:51]
	v_add_f64 v[62:63], v[12:13], -v[42:43]
	v_fma_f64 v[2:3], v[60:61], s[0:1], v[20:21]
	v_add_f64 v[20:21], v[72:73], -v[18:19]
	v_add_f64 v[66:67], v[54:55], -v[70:71]
	;; [unrolled: 1-line block ×3, first 2 shown]
	v_fma_f64 v[76:77], v[8:9], -0.5, v[50:51]
	v_fma_f64 v[8:9], v[60:61], s[0:1], v[44:45]
	v_add_f64 v[38:39], v[38:39], v[118:119]
	v_fma_f64 v[44:45], v[62:63], s[6:7], v[40:41]
	v_fma_f64 v[40:41], v[62:63], s[10:11], v[40:41]
	v_add_f64 v[60:61], v[18:19], -v[72:73]
	v_add_f64 v[78:79], v[70:71], -v[54:55]
	v_add_f64 v[66:67], v[20:21], v[66:67]
	v_fma_f64 v[20:21], v[74:75], s[10:11], v[76:77]
	v_fma_f64 v[76:77], v[74:75], s[6:7], v[76:77]
	v_add_f64 v[80:81], v[18:19], v[50:51]
	v_fma_f64 v[44:45], v[74:75], s[2:3], v[44:45]
	v_add_f64 v[50:51], v[38:39], v[68:69]
	;; [unrolled: 2-line block ×3, first 2 shown]
	v_add_f64 v[60:61], v[60:61], v[78:79]
	v_fma_f64 v[74:75], v[62:63], s[2:3], v[20:21]
	v_fma_f64 v[62:63], v[62:63], s[4:5], v[76:77]
	v_add_f64 v[78:79], v[12:13], v[42:43]
	v_add_f64 v[76:77], v[72:73], v[80:81]
	v_fma_f64 v[20:21], v[66:67], s[0:1], v[44:45]
	v_fma_f64 v[40:41], v[66:67], s[0:1], v[38:39]
	v_add_f64 v[38:39], v[72:73], -v[54:55]
	v_fma_f64 v[66:67], v[68:69], -0.5, v[0:1]
	v_fma_f64 v[44:45], v[60:61], s[0:1], v[74:75]
	v_fma_f64 v[62:63], v[60:61], s[0:1], v[62:63]
	v_add_f64 v[18:19], v[18:19], -v[70:71]
	v_fma_f64 v[60:61], v[78:79], -0.5, v[0:1]
	v_add_f64 v[0:1], v[0:1], v[6:7]
	v_add_f64 v[54:55], v[54:55], v[76:77]
	v_add_f64 v[68:69], v[12:13], -v[6:7]
	v_add_f64 v[72:73], v[42:43], -v[64:65]
	v_fma_f64 v[74:75], v[38:39], s[10:11], v[66:67]
	v_fma_f64 v[76:77], v[38:39], s[6:7], v[66:67]
	v_add_f64 v[6:7], v[6:7], -v[12:13]
	v_add_f64 v[78:79], v[64:65], -v[42:43]
	v_fma_f64 v[80:81], v[18:19], s[6:7], v[60:61]
	v_fma_f64 v[60:61], v[18:19], s[10:11], v[60:61]
	v_add_f64 v[0:1], v[12:13], v[0:1]
	v_add_f64 v[66:67], v[70:71], v[54:55]
	;; [unrolled: 1-line block ×3, first 2 shown]
	v_fma_f64 v[12:13], v[18:19], s[4:5], v[74:75]
	v_fma_f64 v[68:69], v[18:19], s[2:3], v[76:77]
	v_add_f64 v[6:7], v[6:7], v[78:79]
	v_fma_f64 v[70:71], v[38:39], s[4:5], v[80:81]
	v_fma_f64 v[60:61], v[38:39], s[2:3], v[60:61]
	v_add_f64 v[0:1], v[0:1], v[42:43]
	v_mad_u64_u32 v[72:73], s[2:3], s12, v168, 0
	v_fma_f64 v[18:19], v[54:55], s[0:1], v[12:13]
	v_fma_f64 v[30:31], v[100:101], s[0:1], v[30:31]
	v_mov_b32_e32 v12, v73
	v_fma_f64 v[38:39], v[54:55], s[0:1], v[68:69]
	v_mad_u64_u32 v[12:13], s[2:3], s13, v168, v[12:13]
	v_fma_f64 v[42:43], v[6:7], s[0:1], v[70:71]
	v_fma_f64 v[60:61], v[6:7], s[0:1], v[60:61]
	v_mad_u64_u32 v[6:7], s[0:1], s12, v115, 0
	v_add_f64 v[64:65], v[0:1], v[64:65]
	v_mov_b32_e32 v73, v12
	v_mad_u64_u32 v[12:13], s[0:1], s13, v115, v[7:8]
	v_mov_b32_e32 v0, s15
	v_add_co_u32_e32 v68, vcc, s14, v102
	v_add_u32_e32 v13, 0x264, v168
	v_addc_co_u32_e32 v69, vcc, v0, v103, vcc
	v_lshlrev_b64 v[0:1], 4, v[72:73]
	v_mad_u64_u32 v[54:55], s[0:1], s12, v13, 0
	v_add_co_u32_e32 v0, vcc, v68, v0
	v_addc_co_u32_e32 v1, vcc, v69, v1, vcc
	v_mov_b32_e32 v7, v12
	global_store_dwordx4 v[0:1], v[64:67], off
	v_lshlrev_b64 v[0:1], 4, v[6:7]
	v_mov_b32_e32 v6, v55
	v_mad_u64_u32 v[6:7], s[0:1], s13, v13, v[6:7]
	v_add_u32_e32 v12, 0x396, v168
	v_add_co_u32_e32 v0, vcc, v68, v0
	v_mov_b32_e32 v55, v6
	v_mad_u64_u32 v[6:7], s[0:1], s12, v12, 0
	v_addc_co_u32_e32 v1, vcc, v69, v1, vcc
	v_mad_u64_u32 v[12:13], s[0:1], s13, v12, v[7:8]
	v_add_u32_e32 v13, 0x4c8, v168
	global_store_dwordx4 v[0:1], v[60:63], off
	v_lshlrev_b64 v[0:1], 4, v[54:55]
	v_mad_u64_u32 v[54:55], s[0:1], s12, v13, 0
	v_add_co_u32_e32 v0, vcc, v68, v0
	v_addc_co_u32_e32 v1, vcc, v69, v1, vcc
	v_mov_b32_e32 v7, v12
	global_store_dwordx4 v[0:1], v[38:41], off
	v_lshlrev_b64 v[0:1], 4, v[6:7]
	v_mov_b32_e32 v6, v55
	v_mad_u64_u32 v[6:7], s[0:1], s13, v13, v[6:7]
	v_add_co_u32_e32 v0, vcc, v68, v0
	v_mov_b32_e32 v55, v6
	v_mad_u64_u32 v[6:7], s[0:1], s12, v114, 0
	v_addc_co_u32_e32 v1, vcc, v69, v1, vcc
	v_mad_u64_u32 v[12:13], s[0:1], s13, v114, v[7:8]
	global_store_dwordx4 v[0:1], v[18:21], off
	v_lshlrev_b64 v[0:1], 4, v[54:55]
	v_mad_u64_u32 v[18:19], s[0:1], s12, v113, 0
	v_add_co_u32_e32 v0, vcc, v68, v0
	v_addc_co_u32_e32 v1, vcc, v69, v1, vcc
	v_mov_b32_e32 v7, v12
	global_store_dwordx4 v[0:1], v[42:45], off
	v_lshlrev_b64 v[0:1], 4, v[6:7]
	v_mov_b32_e32 v6, v19
	v_mad_u64_u32 v[6:7], s[0:1], s13, v113, v[6:7]
	v_add_u32_e32 v12, 0x2ca, v168
	v_add_co_u32_e32 v0, vcc, v68, v0
	v_mov_b32_e32 v19, v6
	v_mad_u64_u32 v[6:7], s[0:1], s12, v12, 0
	v_addc_co_u32_e32 v1, vcc, v69, v1, vcc
	v_mad_u64_u32 v[12:13], s[0:1], s13, v12, v[7:8]
	v_add_u32_e32 v13, 0x3fc, v168
	global_store_dwordx4 v[0:1], v[50:53], off
	v_lshlrev_b64 v[0:1], 4, v[18:19]
	v_mad_u64_u32 v[18:19], s[0:1], s12, v13, 0
	v_add_co_u32_e32 v0, vcc, v68, v0
	v_addc_co_u32_e32 v1, vcc, v69, v1, vcc
	v_mov_b32_e32 v7, v12
	global_store_dwordx4 v[0:1], v[8:11], off
	v_lshlrev_b64 v[0:1], 4, v[6:7]
	v_mov_b32_e32 v6, v19
	v_mad_u64_u32 v[6:7], s[0:1], s13, v13, v[6:7]
	v_add_u32_e32 v8, 0x52e, v168
	v_add_co_u32_e32 v0, vcc, v68, v0
	v_mov_b32_e32 v19, v6
	v_mad_u64_u32 v[6:7], s[0:1], s12, v8, 0
	s_mov_b32 s0, 0xd62b80d7
	v_mul_hi_u32 v9, v112, s0
	v_addc_co_u32_e32 v1, vcc, v69, v1, vcc
	global_store_dwordx4 v[0:1], v[56:59], off
	v_lshlrev_b64 v[0:1], 4, v[18:19]
	v_mad_u64_u32 v[7:8], s[0:1], s13, v8, v[7:8]
	s_movk_i32 s2, 0x4c8
	v_add_co_u32_e32 v0, vcc, v68, v0
	v_lshrrev_b32_e32 v8, 8, v9
	v_addc_co_u32_e32 v1, vcc, v69, v1, vcc
	v_mad_u32_u24 v10, v8, s2, v112
	v_mad_u64_u32 v[8:9], s[0:1], s12, v10, 0
	global_store_dwordx4 v[0:1], v[46:49], off
	v_lshlrev_b64 v[0:1], 4, v[6:7]
	v_mov_b32_e32 v6, v9
	v_add_co_u32_e32 v0, vcc, v68, v0
	v_addc_co_u32_e32 v1, vcc, v69, v1, vcc
	global_store_dwordx4 v[0:1], v[2:5], off
	v_mad_u64_u32 v[6:7], s[0:1], s13, v10, v[6:7]
	v_add_u32_e32 v4, 0x132, v10
	v_mad_u64_u32 v[2:3], s[0:1], s12, v4, 0
	v_mov_b32_e32 v9, v6
	v_add_u32_e32 v6, 0x264, v10
	v_mad_u64_u32 v[3:4], s[0:1], s13, v4, v[3:4]
	v_lshlrev_b64 v[0:1], 4, v[8:9]
	v_mad_u64_u32 v[4:5], s[0:1], s12, v6, 0
	v_add_co_u32_e32 v0, vcc, v68, v0
	v_addc_co_u32_e32 v1, vcc, v69, v1, vcc
	global_store_dwordx4 v[0:1], v[34:37], off
	v_lshlrev_b64 v[0:1], 4, v[2:3]
	v_mov_b32_e32 v2, v5
	v_mad_u64_u32 v[2:3], s[0:1], s13, v6, v[2:3]
	v_add_co_u32_e32 v0, vcc, v68, v0
	v_addc_co_u32_e32 v1, vcc, v69, v1, vcc
	v_mov_b32_e32 v5, v2
	global_store_dwordx4 v[0:1], v[30:33], off
	v_lshlrev_b64 v[0:1], 4, v[4:5]
	v_add_u32_e32 v4, 0x396, v10
	v_mad_u64_u32 v[2:3], s[0:1], s12, v4, 0
	v_add_u32_e32 v6, 0x4c8, v10
	v_add_co_u32_e32 v0, vcc, v68, v0
	v_mad_u64_u32 v[3:4], s[0:1], s13, v4, v[3:4]
	v_mad_u64_u32 v[4:5], s[0:1], s12, v6, 0
	v_addc_co_u32_e32 v1, vcc, v69, v1, vcc
	global_store_dwordx4 v[0:1], v[26:29], off
	v_lshlrev_b64 v[0:1], 4, v[2:3]
	v_mov_b32_e32 v2, v5
	v_mad_u64_u32 v[2:3], s[0:1], s13, v6, v[2:3]
	v_add_co_u32_e32 v0, vcc, v68, v0
	v_addc_co_u32_e32 v1, vcc, v69, v1, vcc
	v_mov_b32_e32 v5, v2
	global_store_dwordx4 v[0:1], v[22:25], off
	v_lshlrev_b64 v[0:1], 4, v[4:5]
	v_add_co_u32_e32 v0, vcc, v68, v0
	v_addc_co_u32_e32 v1, vcc, v69, v1, vcc
	global_store_dwordx4 v[0:1], v[14:17], off
.LBB0_25:
	s_endpgm
	.section	.rodata,"a",@progbits
	.p2align	6, 0x0
	.amdhsa_kernel fft_rtc_fwd_len1530_factors_17_3_6_5_wgs_102_tpt_102_halfLds_dp_ip_CI_sbrr_dirReg
		.amdhsa_group_segment_fixed_size 0
		.amdhsa_private_segment_fixed_size 0
		.amdhsa_kernarg_size 88
		.amdhsa_user_sgpr_count 6
		.amdhsa_user_sgpr_private_segment_buffer 1
		.amdhsa_user_sgpr_dispatch_ptr 0
		.amdhsa_user_sgpr_queue_ptr 0
		.amdhsa_user_sgpr_kernarg_segment_ptr 1
		.amdhsa_user_sgpr_dispatch_id 0
		.amdhsa_user_sgpr_flat_scratch_init 0
		.amdhsa_user_sgpr_private_segment_size 0
		.amdhsa_uses_dynamic_stack 0
		.amdhsa_system_sgpr_private_segment_wavefront_offset 0
		.amdhsa_system_sgpr_workgroup_id_x 1
		.amdhsa_system_sgpr_workgroup_id_y 0
		.amdhsa_system_sgpr_workgroup_id_z 0
		.amdhsa_system_sgpr_workgroup_info 0
		.amdhsa_system_vgpr_workitem_id 0
		.amdhsa_next_free_vgpr 217
		.amdhsa_next_free_sgpr 58
		.amdhsa_reserve_vcc 1
		.amdhsa_reserve_flat_scratch 0
		.amdhsa_float_round_mode_32 0
		.amdhsa_float_round_mode_16_64 0
		.amdhsa_float_denorm_mode_32 3
		.amdhsa_float_denorm_mode_16_64 3
		.amdhsa_dx10_clamp 1
		.amdhsa_ieee_mode 1
		.amdhsa_fp16_overflow 0
		.amdhsa_exception_fp_ieee_invalid_op 0
		.amdhsa_exception_fp_denorm_src 0
		.amdhsa_exception_fp_ieee_div_zero 0
		.amdhsa_exception_fp_ieee_overflow 0
		.amdhsa_exception_fp_ieee_underflow 0
		.amdhsa_exception_fp_ieee_inexact 0
		.amdhsa_exception_int_div_zero 0
	.end_amdhsa_kernel
	.text
.Lfunc_end0:
	.size	fft_rtc_fwd_len1530_factors_17_3_6_5_wgs_102_tpt_102_halfLds_dp_ip_CI_sbrr_dirReg, .Lfunc_end0-fft_rtc_fwd_len1530_factors_17_3_6_5_wgs_102_tpt_102_halfLds_dp_ip_CI_sbrr_dirReg
                                        ; -- End function
	.section	.AMDGPU.csdata,"",@progbits
; Kernel info:
; codeLenInByte = 16268
; NumSgprs: 62
; NumVgprs: 217
; ScratchSize: 0
; MemoryBound: 1
; FloatMode: 240
; IeeeMode: 1
; LDSByteSize: 0 bytes/workgroup (compile time only)
; SGPRBlocks: 7
; VGPRBlocks: 54
; NumSGPRsForWavesPerEU: 62
; NumVGPRsForWavesPerEU: 217
; Occupancy: 1
; WaveLimiterHint : 1
; COMPUTE_PGM_RSRC2:SCRATCH_EN: 0
; COMPUTE_PGM_RSRC2:USER_SGPR: 6
; COMPUTE_PGM_RSRC2:TRAP_HANDLER: 0
; COMPUTE_PGM_RSRC2:TGID_X_EN: 1
; COMPUTE_PGM_RSRC2:TGID_Y_EN: 0
; COMPUTE_PGM_RSRC2:TGID_Z_EN: 0
; COMPUTE_PGM_RSRC2:TIDIG_COMP_CNT: 0
	.type	__hip_cuid_c623edba4e6dc561,@object ; @__hip_cuid_c623edba4e6dc561
	.section	.bss,"aw",@nobits
	.globl	__hip_cuid_c623edba4e6dc561
__hip_cuid_c623edba4e6dc561:
	.byte	0                               ; 0x0
	.size	__hip_cuid_c623edba4e6dc561, 1

	.ident	"AMD clang version 19.0.0git (https://github.com/RadeonOpenCompute/llvm-project roc-6.4.0 25133 c7fe45cf4b819c5991fe208aaa96edf142730f1d)"
	.section	".note.GNU-stack","",@progbits
	.addrsig
	.addrsig_sym __hip_cuid_c623edba4e6dc561
	.amdgpu_metadata
---
amdhsa.kernels:
  - .args:
      - .actual_access:  read_only
        .address_space:  global
        .offset:         0
        .size:           8
        .value_kind:     global_buffer
      - .offset:         8
        .size:           8
        .value_kind:     by_value
      - .actual_access:  read_only
        .address_space:  global
        .offset:         16
        .size:           8
        .value_kind:     global_buffer
      - .actual_access:  read_only
        .address_space:  global
        .offset:         24
        .size:           8
        .value_kind:     global_buffer
      - .offset:         32
        .size:           8
        .value_kind:     by_value
      - .actual_access:  read_only
        .address_space:  global
        .offset:         40
        .size:           8
        .value_kind:     global_buffer
      - .actual_access:  read_only
        .address_space:  global
        .offset:         48
        .size:           8
        .value_kind:     global_buffer
      - .offset:         56
        .size:           4
        .value_kind:     by_value
      - .actual_access:  read_only
        .address_space:  global
        .offset:         64
        .size:           8
        .value_kind:     global_buffer
      - .actual_access:  read_only
        .address_space:  global
        .offset:         72
        .size:           8
        .value_kind:     global_buffer
      - .address_space:  global
        .offset:         80
        .size:           8
        .value_kind:     global_buffer
    .group_segment_fixed_size: 0
    .kernarg_segment_align: 8
    .kernarg_segment_size: 88
    .language:       OpenCL C
    .language_version:
      - 2
      - 0
    .max_flat_workgroup_size: 102
    .name:           fft_rtc_fwd_len1530_factors_17_3_6_5_wgs_102_tpt_102_halfLds_dp_ip_CI_sbrr_dirReg
    .private_segment_fixed_size: 0
    .sgpr_count:     62
    .sgpr_spill_count: 0
    .symbol:         fft_rtc_fwd_len1530_factors_17_3_6_5_wgs_102_tpt_102_halfLds_dp_ip_CI_sbrr_dirReg.kd
    .uniform_work_group_size: 1
    .uses_dynamic_stack: false
    .vgpr_count:     217
    .vgpr_spill_count: 0
    .wavefront_size: 64
amdhsa.target:   amdgcn-amd-amdhsa--gfx906
amdhsa.version:
  - 1
  - 2
...

	.end_amdgpu_metadata
